;; amdgpu-corpus repo=ROCm/rocFFT kind=compiled arch=gfx950 opt=O3
	.text
	.amdgcn_target "amdgcn-amd-amdhsa--gfx950"
	.amdhsa_code_object_version 6
	.protected	fft_rtc_fwd_len2880_factors_10_6_6_2_2_2_wgs_96_tpt_96_halfLds_sp_op_CI_CI_sbrr_dirReg ; -- Begin function fft_rtc_fwd_len2880_factors_10_6_6_2_2_2_wgs_96_tpt_96_halfLds_sp_op_CI_CI_sbrr_dirReg
	.globl	fft_rtc_fwd_len2880_factors_10_6_6_2_2_2_wgs_96_tpt_96_halfLds_sp_op_CI_CI_sbrr_dirReg
	.p2align	8
	.type	fft_rtc_fwd_len2880_factors_10_6_6_2_2_2_wgs_96_tpt_96_halfLds_sp_op_CI_CI_sbrr_dirReg,@function
fft_rtc_fwd_len2880_factors_10_6_6_2_2_2_wgs_96_tpt_96_halfLds_sp_op_CI_CI_sbrr_dirReg: ; @fft_rtc_fwd_len2880_factors_10_6_6_2_2_2_wgs_96_tpt_96_halfLds_sp_op_CI_CI_sbrr_dirReg
; %bb.0:
	s_load_dwordx4 s[12:15], s[0:1], 0x18
	s_load_dwordx4 s[8:11], s[0:1], 0x0
	;; [unrolled: 1-line block ×3, first 2 shown]
	v_mul_u32_u24_e32 v1, 0x2ab, v0
	v_add_u32_sdwa v4, s2, v1 dst_sel:DWORD dst_unused:UNUSED_PAD src0_sel:DWORD src1_sel:WORD_1
	s_waitcnt lgkmcnt(0)
	s_load_dwordx2 s[18:19], s[12:13], 0x0
	s_load_dwordx2 s[16:17], s[14:15], 0x0
	v_mov_b32_e32 v2, 0
	v_cmp_lt_u64_e64 s[2:3], s[10:11], 2
	v_mov_b32_e32 v5, v2
	s_and_b64 vcc, exec, s[2:3]
	v_mov_b64_e32 v[104:105], 0
	s_cbranch_vccnz .LBB0_8
; %bb.1:
	s_load_dwordx2 s[2:3], s[0:1], 0x10
	s_add_u32 s20, s14, 8
	s_addc_u32 s21, s15, 0
	s_add_u32 s22, s12, 8
	s_addc_u32 s23, s13, 0
	s_waitcnt lgkmcnt(0)
	s_add_u32 s24, s2, 8
	v_mov_b64_e32 v[104:105], 0
	s_addc_u32 s25, s3, 0
	s_mov_b64 s[26:27], 1
	v_mov_b64_e32 v[34:35], v[104:105]
.LBB0_2:                                ; =>This Inner Loop Header: Depth=1
	s_load_dwordx2 s[28:29], s[24:25], 0x0
                                        ; implicit-def: $vgpr36_vgpr37
	s_waitcnt lgkmcnt(0)
	v_or_b32_e32 v3, s29, v5
	v_cmp_ne_u64_e32 vcc, 0, v[2:3]
	s_and_saveexec_b64 s[2:3], vcc
	s_xor_b64 s[30:31], exec, s[2:3]
	s_cbranch_execz .LBB0_4
; %bb.3:                                ;   in Loop: Header=BB0_2 Depth=1
	v_cvt_f32_u32_e32 v1, s28
	v_cvt_f32_u32_e32 v3, s29
	s_sub_u32 s2, 0, s28
	s_subb_u32 s3, 0, s29
	v_fmac_f32_e32 v1, 0x4f800000, v3
	v_rcp_f32_e32 v1, v1
	s_nop 0
	v_mul_f32_e32 v1, 0x5f7ffffc, v1
	v_mul_f32_e32 v3, 0x2f800000, v1
	v_trunc_f32_e32 v3, v3
	v_fmac_f32_e32 v1, 0xcf800000, v3
	v_cvt_u32_f32_e32 v3, v3
	v_cvt_u32_f32_e32 v1, v1
	v_mul_lo_u32 v6, s2, v3
	v_mul_hi_u32 v8, s2, v1
	v_mul_lo_u32 v7, s3, v1
	v_add_u32_e32 v8, v8, v6
	v_mul_lo_u32 v10, s2, v1
	v_add_u32_e32 v11, v8, v7
	v_mul_hi_u32 v6, v1, v10
	v_mul_hi_u32 v9, v1, v11
	v_mul_lo_u32 v8, v1, v11
	v_mov_b32_e32 v7, v2
	v_lshl_add_u64 v[6:7], v[6:7], 0, v[8:9]
	v_mul_hi_u32 v9, v3, v10
	v_mul_lo_u32 v10, v3, v10
	v_add_co_u32_e32 v6, vcc, v6, v10
	v_mul_hi_u32 v8, v3, v11
	s_nop 0
	v_addc_co_u32_e32 v6, vcc, v7, v9, vcc
	v_mov_b32_e32 v7, v2
	s_nop 0
	v_addc_co_u32_e32 v9, vcc, 0, v8, vcc
	v_mul_lo_u32 v8, v3, v11
	v_lshl_add_u64 v[6:7], v[6:7], 0, v[8:9]
	v_add_co_u32_e32 v1, vcc, v1, v6
	v_mul_lo_u32 v8, s2, v1
	s_nop 0
	v_addc_co_u32_e32 v3, vcc, v3, v7, vcc
	v_mul_lo_u32 v6, s2, v3
	v_mul_hi_u32 v7, s2, v1
	v_add_u32_e32 v6, v7, v6
	v_mul_lo_u32 v7, s3, v1
	v_add_u32_e32 v10, v6, v7
	v_mul_hi_u32 v12, v3, v8
	v_mul_lo_u32 v13, v3, v8
	v_mul_hi_u32 v7, v1, v10
	v_mul_lo_u32 v6, v1, v10
	v_mul_hi_u32 v8, v1, v8
	v_mov_b32_e32 v9, v2
	v_lshl_add_u64 v[6:7], v[8:9], 0, v[6:7]
	v_add_co_u32_e32 v6, vcc, v6, v13
	v_mul_hi_u32 v11, v3, v10
	s_nop 0
	v_addc_co_u32_e32 v6, vcc, v7, v12, vcc
	v_mul_lo_u32 v8, v3, v10
	s_nop 0
	v_addc_co_u32_e32 v9, vcc, 0, v11, vcc
	v_mov_b32_e32 v7, v2
	v_lshl_add_u64 v[6:7], v[6:7], 0, v[8:9]
	v_add_co_u32_e32 v1, vcc, v1, v6
	v_mul_hi_u32 v8, v4, v1
	s_nop 0
	v_addc_co_u32_e32 v3, vcc, v3, v7, vcc
	v_mad_u64_u32 v[6:7], s[2:3], v4, v3, 0
	v_mov_b32_e32 v9, v2
	v_lshl_add_u64 v[6:7], v[8:9], 0, v[6:7]
	v_mad_u64_u32 v[10:11], s[2:3], v5, v1, 0
	v_add_co_u32_e32 v1, vcc, v6, v10
	v_mad_u64_u32 v[8:9], s[2:3], v5, v3, 0
	s_nop 0
	v_addc_co_u32_e32 v6, vcc, v7, v11, vcc
	v_mov_b32_e32 v7, v2
	s_nop 0
	v_addc_co_u32_e32 v9, vcc, 0, v9, vcc
	v_lshl_add_u64 v[6:7], v[6:7], 0, v[8:9]
	v_mul_lo_u32 v1, s29, v6
	v_mul_lo_u32 v3, s28, v7
	v_mad_u64_u32 v[8:9], s[2:3], s28, v6, 0
	v_add3_u32 v1, v9, v3, v1
	v_sub_u32_e32 v3, v5, v1
	v_mov_b32_e32 v9, s29
	v_sub_co_u32_e32 v12, vcc, v4, v8
	v_lshl_add_u64 v[10:11], v[6:7], 0, 1
	s_nop 0
	v_subb_co_u32_e64 v3, s[2:3], v3, v9, vcc
	v_subrev_co_u32_e64 v8, s[2:3], s28, v12
	v_subb_co_u32_e32 v1, vcc, v5, v1, vcc
	s_nop 0
	v_subbrev_co_u32_e64 v3, s[2:3], 0, v3, s[2:3]
	v_cmp_le_u32_e64 s[2:3], s29, v3
	v_cmp_le_u32_e32 vcc, s29, v1
	s_nop 0
	v_cndmask_b32_e64 v9, 0, -1, s[2:3]
	v_cmp_le_u32_e64 s[2:3], s28, v8
	s_nop 1
	v_cndmask_b32_e64 v8, 0, -1, s[2:3]
	v_cmp_eq_u32_e64 s[2:3], s29, v3
	s_nop 1
	v_cndmask_b32_e64 v3, v9, v8, s[2:3]
	v_lshl_add_u64 v[8:9], v[6:7], 0, 2
	v_cmp_ne_u32_e64 s[2:3], 0, v3
	s_nop 1
	v_cndmask_b32_e64 v3, v11, v9, s[2:3]
	v_cndmask_b32_e64 v9, 0, -1, vcc
	v_cmp_le_u32_e32 vcc, s28, v12
	s_nop 1
	v_cndmask_b32_e64 v11, 0, -1, vcc
	v_cmp_eq_u32_e32 vcc, s29, v1
	s_nop 1
	v_cndmask_b32_e32 v1, v9, v11, vcc
	v_cmp_ne_u32_e32 vcc, 0, v1
	v_cndmask_b32_e64 v1, v10, v8, s[2:3]
	s_nop 0
	v_cndmask_b32_e32 v37, v7, v3, vcc
	v_cndmask_b32_e32 v36, v6, v1, vcc
.LBB0_4:                                ;   in Loop: Header=BB0_2 Depth=1
	s_andn2_saveexec_b64 s[2:3], s[30:31]
	s_cbranch_execz .LBB0_6
; %bb.5:                                ;   in Loop: Header=BB0_2 Depth=1
	v_cvt_f32_u32_e32 v1, s28
	s_sub_i32 s30, 0, s28
	v_mov_b32_e32 v37, v2
	v_rcp_iflag_f32_e32 v1, v1
	s_nop 0
	v_mul_f32_e32 v1, 0x4f7ffffe, v1
	v_cvt_u32_f32_e32 v1, v1
	v_mul_lo_u32 v3, s30, v1
	v_mul_hi_u32 v3, v1, v3
	v_add_u32_e32 v1, v1, v3
	v_mul_hi_u32 v1, v4, v1
	v_mul_lo_u32 v3, v1, s28
	v_sub_u32_e32 v3, v4, v3
	v_add_u32_e32 v6, 1, v1
	v_subrev_u32_e32 v7, s28, v3
	v_cmp_le_u32_e32 vcc, s28, v3
	s_nop 1
	v_cndmask_b32_e32 v3, v3, v7, vcc
	v_cndmask_b32_e32 v1, v1, v6, vcc
	v_add_u32_e32 v6, 1, v1
	v_cmp_le_u32_e32 vcc, s28, v3
	s_nop 1
	v_cndmask_b32_e32 v36, v1, v6, vcc
.LBB0_6:                                ;   in Loop: Header=BB0_2 Depth=1
	s_or_b64 exec, exec, s[2:3]
	v_mad_u64_u32 v[6:7], s[2:3], v36, s28, 0
	s_load_dwordx2 s[2:3], s[22:23], 0x0
	v_mul_lo_u32 v1, v37, s28
	v_mul_lo_u32 v3, v36, s29
	s_load_dwordx2 s[28:29], s[20:21], 0x0
	s_add_u32 s26, s26, 1
	v_add3_u32 v1, v7, v3, v1
	v_sub_co_u32_e32 v3, vcc, v4, v6
	s_addc_u32 s27, s27, 0
	s_nop 0
	v_subb_co_u32_e32 v1, vcc, v5, v1, vcc
	s_add_u32 s20, s20, 8
	s_waitcnt lgkmcnt(0)
	v_mul_lo_u32 v4, s2, v1
	v_mul_lo_u32 v5, s3, v3
	v_mad_u64_u32 v[104:105], s[2:3], s2, v3, v[104:105]
	s_addc_u32 s21, s21, 0
	v_add3_u32 v105, v5, v105, v4
	v_mul_lo_u32 v1, s28, v1
	v_mul_lo_u32 v4, s29, v3
	v_mad_u64_u32 v[34:35], s[2:3], s28, v3, v[34:35]
	s_add_u32 s22, s22, 8
	v_add3_u32 v35, v4, v35, v1
	s_addc_u32 s23, s23, 0
	v_mov_b64_e32 v[4:5], s[10:11]
	s_add_u32 s24, s24, 8
	v_cmp_ge_u64_e32 vcc, s[26:27], v[4:5]
	s_addc_u32 s25, s25, 0
	s_cbranch_vccnz .LBB0_9
; %bb.7:                                ;   in Loop: Header=BB0_2 Depth=1
	v_mov_b64_e32 v[4:5], v[36:37]
	s_branch .LBB0_2
.LBB0_8:
	v_mov_b64_e32 v[34:35], v[104:105]
	v_mov_b64_e32 v[36:37], v[4:5]
.LBB0_9:
	s_load_dwordx2 s[0:1], s[0:1], 0x28
	s_lshl_b64 s[10:11], s[10:11], 3
	s_add_u32 s2, s14, s10
	s_addc_u32 s3, s15, s11
                                        ; implicit-def: $vgpr50_vgpr51
                                        ; implicit-def: $vgpr32
                                        ; implicit-def: $vgpr48
                                        ; implicit-def: $vgpr62
                                        ; implicit-def: $vgpr44
                                        ; implicit-def: $vgpr60
                                        ; implicit-def: $vgpr58
                                        ; implicit-def: $vgpr42
                                        ; implicit-def: $vgpr52
                                        ; implicit-def: $vgpr38
                                        ; implicit-def: $vgpr54
                                        ; implicit-def: $vgpr40
                                        ; implicit-def: $vgpr46
                                        ; implicit-def: $vgpr56
                                        ; implicit-def: $vgpr66_vgpr67
                                        ; implicit-def: $vgpr64_vgpr65
	s_waitcnt lgkmcnt(0)
	v_cmp_gt_u64_e32 vcc, s[0:1], v[36:37]
	v_cmp_le_u64_e64 s[0:1], s[0:1], v[36:37]
	s_and_saveexec_b64 s[14:15], s[0:1]
	s_xor_b64 s[0:1], exec, s[14:15]
	s_cbranch_execz .LBB0_11
; %bb.10:
	s_mov_b32 s14, 0x2aaaaab
	v_mul_hi_u32 v1, v0, s14
	v_mul_u32_u24_e32 v1, 0x60, v1
	v_sub_u32_e32 v32, v0, v1
	v_add_u32_e32 v51, 0x120, v32
	v_add_u32_e32 v50, 0xc0, v32
	v_mov_b32_e32 v33, 0
	v_add_u32_e32 v48, 0x60, v32
	v_add_u32_e32 v62, 0x1e0, v32
	;; [unrolled: 1-line block ×3, first 2 shown]
	v_or_b32_e32 v60, 0x180, v32
	v_add_u32_e32 v58, 0x240, v32
	v_add_u32_e32 v42, 0x2a0, v32
	v_or_b32_e32 v52, 0x300, v32
	v_add_u32_e32 v38, 0x360, v32
	v_add_u32_e32 v54, 0x420, v32
	;; [unrolled: 3-line block ×3, first 2 shown]
	v_mov_b32_e32 v49, v33
	v_mov_b32_e32 v66, v50
	;; [unrolled: 1-line block ×8, first 2 shown]
                                        ; implicit-def: $vgpr0
                                        ; implicit-def: $vgpr104_vgpr105
.LBB0_11:
	s_or_saveexec_b64 s[0:1], s[0:1]
                                        ; implicit-def: $vgpr94
                                        ; implicit-def: $vgpr90
                                        ; implicit-def: $vgpr80
                                        ; implicit-def: $vgpr76
                                        ; implicit-def: $vgpr28
                                        ; implicit-def: $vgpr24
                                        ; implicit-def: $vgpr8
                                        ; implicit-def: $vgpr30
                                        ; implicit-def: $vgpr2
                                        ; implicit-def: $vgpr70
                                        ; implicit-def: $vgpr68
                                        ; implicit-def: $vgpr72
                                        ; implicit-def: $vgpr12
                                        ; implicit-def: $vgpr86
                                        ; implicit-def: $vgpr6
                                        ; implicit-def: $vgpr84
                                        ; implicit-def: $vgpr88
                                        ; implicit-def: $vgpr82
                                        ; implicit-def: $vgpr22
                                        ; implicit-def: $vgpr96
                                        ; implicit-def: $vgpr16
                                        ; implicit-def: $vgpr100
                                        ; implicit-def: $vgpr102
                                        ; implicit-def: $vgpr98
                                        ; implicit-def: $vgpr14
                                        ; implicit-def: $vgpr20
                                        ; implicit-def: $vgpr74
                                        ; implicit-def: $vgpr92
                                        ; implicit-def: $vgpr18
                                        ; implicit-def: $vgpr78
                                        ; implicit-def: $vgpr10
                                        ; implicit-def: $vgpr26
                                        ; implicit-def: $vgpr4
	s_xor_b64 exec, exec, s[0:1]
	s_cbranch_execz .LBB0_13
; %bb.12:
	s_add_u32 s10, s12, s10
	s_addc_u32 s11, s13, s11
	s_load_dwordx2 s[10:11], s[10:11], 0x0
	s_mov_b32 s12, 0x2aaaaab
	s_waitcnt lgkmcnt(0)
	v_mul_lo_u32 v1, s11, v36
	v_mul_lo_u32 v2, s10, v37
	v_mad_u64_u32 v[4:5], s[10:11], s10, v36, 0
	v_add3_u32 v5, v5, v2, v1
	v_mul_hi_u32 v1, v0, s12
	v_mul_u32_u24_e32 v1, 0x60, v1
	v_sub_u32_e32 v32, v0, v1
	v_mad_u64_u32 v[2:3], s[10:11], s18, v32, 0
	v_mov_b32_e32 v0, v3
	v_mad_u64_u32 v[0:1], s[10:11], s19, v32, v[0:1]
	v_add_u32_e32 v58, 0x240, v32
	v_mov_b32_e32 v3, v0
	v_lshl_add_u64 v[0:1], v[4:5], 3, s[4:5]
	v_mad_u64_u32 v[4:5], s[4:5], s18, v58, 0
	v_mov_b32_e32 v6, v5
	v_mad_u64_u32 v[6:7], s[4:5], s19, v58, v[6:7]
	v_add_u32_e32 v38, 0x360, v32
	v_mov_b32_e32 v5, v6
	v_mad_u64_u32 v[6:7], s[4:5], s18, v38, 0
	v_mov_b32_e32 v8, v7
	v_mad_u64_u32 v[8:9], s[4:5], s19, v38, v[8:9]
	v_or_b32_e32 v40, 0x480, v32
	v_mov_b32_e32 v7, v8
	v_mad_u64_u32 v[8:9], s[4:5], s18, v40, 0
	v_mov_b32_e32 v10, v9
	v_mad_u64_u32 v[10:11], s[4:5], s19, v40, v[10:11]
	v_add_u32_e32 v13, 0x5a0, v32
	v_mov_b32_e32 v9, v10
	v_mad_u64_u32 v[10:11], s[4:5], s18, v13, 0
	v_mov_b32_e32 v12, v11
	v_mad_u64_u32 v[12:13], s[4:5], s19, v13, v[12:13]
	v_add_u32_e32 v15, 0x6c0, v32
	;; [unrolled: 5-line block ×3, first 2 shown]
	v_mov_b32_e32 v13, v14
	v_mad_u64_u32 v[14:15], s[4:5], s18, v17, 0
	v_mov_b32_e32 v16, v15
	v_mad_u64_u32 v[16:17], s[4:5], s19, v17, v[16:17]
	v_or_b32_e32 v19, 0x900, v32
	v_mov_b32_e32 v15, v16
	v_mad_u64_u32 v[16:17], s[4:5], s18, v19, 0
	v_mov_b32_e32 v18, v17
	v_mad_u64_u32 v[18:19], s[4:5], s19, v19, v[18:19]
	v_add_u32_e32 v21, 0xa20, v32
	v_mov_b32_e32 v17, v18
	v_mad_u64_u32 v[18:19], s[4:5], s18, v21, 0
	v_mov_b32_e32 v20, v19
	v_mad_u64_u32 v[20:21], s[4:5], s19, v21, v[20:21]
	v_add_u32_e32 v48, 0x60, v32
	v_mov_b32_e32 v19, v20
	v_mad_u64_u32 v[20:21], s[4:5], s18, v48, 0
	v_mov_b32_e32 v22, v21
	v_mad_u64_u32 v[22:23], s[4:5], s19, v48, v[22:23]
	v_or_b32_e32 v60, 0x180, v32
	v_mov_b32_e32 v21, v22
	v_mad_u64_u32 v[22:23], s[4:5], s18, v60, 0
	v_mov_b32_e32 v24, v23
	v_mad_u64_u32 v[24:25], s[4:5], s19, v60, v[24:25]
	v_add_u32_e32 v42, 0x2a0, v32
	v_mov_b32_e32 v23, v24
	v_mad_u64_u32 v[24:25], s[4:5], s18, v42, 0
	v_mov_b32_e32 v26, v25
	v_mad_u64_u32 v[26:27], s[4:5], s19, v42, v[26:27]
	v_add_u32_e32 v44, 0x3c0, v32
	;; [unrolled: 5-line block ×3, first 2 shown]
	v_mov_b32_e32 v27, v28
	v_mad_u64_u32 v[28:29], s[4:5], s18, v46, 0
	v_mov_b32_e32 v30, v29
	v_mad_u64_u32 v[30:31], s[4:5], s19, v46, v[30:31]
	v_or_b32_e32 v33, 0x600, v32
	v_mov_b32_e32 v29, v30
	v_mad_u64_u32 v[30:31], s[4:5], s18, v33, 0
	v_mov_b32_e32 v50, v31
	v_mad_u64_u32 v[50:51], s[4:5], s19, v33, v[50:51]
	v_add_u32_e32 v33, 0x720, v32
	v_mad_u64_u32 v[64:65], s[4:5], s18, v33, 0
	v_mov_b32_e32 v31, v50
	v_mov_b32_e32 v50, v65
	v_mad_u64_u32 v[50:51], s[4:5], s19, v33, v[50:51]
	v_add_u32_e32 v33, 0x840, v32
	v_mad_u64_u32 v[66:67], s[4:5], s18, v33, 0
	v_mov_b32_e32 v65, v50
	;; [unrolled: 5-line block ×3, first 2 shown]
	v_mov_b32_e32 v50, v69
	v_mad_u64_u32 v[50:51], s[4:5], s19, v33, v[50:51]
	v_or_b32_e32 v33, 0xa80, v32
	v_mad_u64_u32 v[70:71], s[4:5], s18, v33, 0
	v_mov_b32_e32 v69, v50
	v_mov_b32_e32 v50, v71
	v_mad_u64_u32 v[50:51], s[4:5], s19, v33, v[50:51]
	v_add_u32_e32 v51, 0x120, v32
	v_mad_u64_u32 v[72:73], s[4:5], s18, v51, 0
	v_mov_b32_e32 v71, v50
	v_mov_b32_e32 v50, v73
	v_mad_u64_u32 v[52:53], s[4:5], s19, v51, v[50:51]
	v_add_u32_e32 v50, 0xc0, v32
	v_mov_b32_e32 v73, v52
	v_mad_u64_u32 v[52:53], s[4:5], s18, v50, 0
	v_mov_b32_e32 v54, v53
	v_mad_u64_u32 v[54:55], s[4:5], s19, v50, v[54:55]
	v_lshl_add_u64 v[0:1], v[104:105], 3, v[0:1]
	v_mov_b32_e32 v53, v54
	v_add_u32_e32 v62, 0x1e0, v32
	v_lshl_add_u64 v[52:53], v[52:53], 3, v[0:1]
	v_mad_u64_u32 v[76:77], s[4:5], s18, v62, 0
	global_load_dwordx2 v[74:75], v[52:53], off
	v_mov_b32_e32 v52, v77
	v_mad_u64_u32 v[52:53], s[4:5], s19, v62, v[52:53]
	v_mov_b32_e32 v77, v52
	v_or_b32_e32 v52, 0x300, v32
	v_mad_u64_u32 v[78:79], s[4:5], s18, v52, 0
	v_mov_b32_e32 v54, v79
	v_mad_u64_u32 v[54:55], s[4:5], s19, v52, v[54:55]
	v_mov_b32_e32 v79, v54
	v_add_u32_e32 v54, 0x420, v32
	v_mad_u64_u32 v[80:81], s[4:5], s18, v54, 0
	v_mov_b32_e32 v56, v81
	v_mad_u64_u32 v[56:57], s[4:5], s19, v54, v[56:57]
	v_mov_b32_e32 v81, v56
	v_add_u32_e32 v56, 0x540, v32
	v_mad_u64_u32 v[82:83], s[4:5], s18, v56, 0
	v_mov_b32_e32 v84, v83
	v_mad_u64_u32 v[84:85], s[4:5], s19, v56, v[84:85]
	v_add_u32_e32 v33, 0x660, v32
	v_mov_b32_e32 v83, v84
	v_mad_u64_u32 v[84:85], s[4:5], s18, v33, 0
	v_mov_b32_e32 v86, v85
	v_mad_u64_u32 v[86:87], s[4:5], s19, v33, v[86:87]
	v_or_b32_e32 v33, 0x780, v32
	v_mov_b32_e32 v85, v86
	v_mad_u64_u32 v[86:87], s[4:5], s18, v33, 0
	v_mov_b32_e32 v88, v87
	v_mad_u64_u32 v[88:89], s[4:5], s19, v33, v[88:89]
	v_add_u32_e32 v33, 0x8a0, v32
	v_mov_b32_e32 v87, v88
	v_mad_u64_u32 v[88:89], s[4:5], s18, v33, 0
	v_mov_b32_e32 v90, v89
	v_mad_u64_u32 v[90:91], s[4:5], s19, v33, v[90:91]
	v_add_u32_e32 v33, 0x9c0, v32
	v_mov_b32_e32 v89, v90
	v_mad_u64_u32 v[90:91], s[4:5], s18, v33, 0
	v_mov_b32_e32 v92, v91
	v_mad_u64_u32 v[92:93], s[4:5], s19, v33, v[92:93]
	v_add_u32_e32 v33, 0xae0, v32
	v_mov_b32_e32 v91, v92
	v_mad_u64_u32 v[92:93], s[4:5], s18, v33, 0
	v_mov_b32_e32 v94, v93
	v_mad_u64_u32 v[94:95], s[4:5], s19, v33, v[94:95]
	v_mov_b32_e32 v93, v94
	v_lshl_add_u64 v[2:3], v[2:3], 3, v[0:1]
	v_lshl_add_u64 v[4:5], v[4:5], 3, v[0:1]
	;; [unrolled: 1-line block ×29, first 2 shown]
	global_load_dwordx2 v[80:81], v[24:25], off
	global_load_dwordx2 v[82:83], v[22:23], off
	;; [unrolled: 1-line block ×15, first 2 shown]
                                        ; kill: killed $vgpr30_vgpr31
                                        ; kill: killed $vgpr24_vgpr25
                                        ; kill: killed $vgpr26_vgpr27
                                        ; kill: killed $vgpr6_vgpr7
                                        ; kill: killed $vgpr2_vgpr3
                                        ; kill: killed $vgpr28_vgpr29
                                        ; kill: killed $vgpr98_vgpr99
                                        ; kill: killed $vgpr12_vgpr13
                                        ; kill: killed $vgpr4_vgpr5
                                        ; kill: killed $vgpr8_vgpr9
                                        ; kill: killed $vgpr104_vgpr105
                                        ; kill: killed $vgpr20_vgpr21
                                        ; kill: killed $vgpr14_vgpr15
                                        ; kill: killed $vgpr10_vgpr11
                                        ; kill: killed $vgpr22_vgpr23
	global_load_dwordx2 v[88:89], v[106:107], off
	global_load_dwordx2 v[24:25], v[118:119], off
	;; [unrolled: 1-line block ×14, first 2 shown]
	v_mov_b32_e32 v33, 0
	v_mov_b32_e32 v59, v33
	;; [unrolled: 1-line block ×9, first 2 shown]
	s_waitcnt vmcnt(29)
	v_mov_b32_e32 v8, v75
	v_mov_b32_e32 v15, v74
	s_waitcnt vmcnt(28)
	v_mov_b32_e32 v20, v81
	s_waitcnt vmcnt(26)
	v_mov_b32_e32 v12, v129
	v_mov_b32_e32 v21, v128
	s_waitcnt vmcnt(24)
	v_mov_b32_e32 v22, v131
	s_waitcnt vmcnt(23)
	;; [unrolled: 2-line block ×3, first 2 shown]
	v_mov_b32_e32 v23, v91
	v_mov_b32_e32 v75, v130
	s_waitcnt vmcnt(14)
	v_mov_b32_e32 v13, v77
	s_waitcnt vmcnt(12)
	;; [unrolled: 2-line block ×3, first 2 shown]
	v_mov_b32_e32 v14, v29
.LBB0_13:
	s_or_b64 exec, exec, s[0:1]
	v_mov_b32_e32 v95, v18
	v_mov_b32_e32 v91, v92
	v_pk_add_f32 v[0:1], v[94:95], v[90:91] neg_lo:[0,1] neg_hi:[0,1]
	s_mov_b32 s5, 0x3f167918
	v_mov_b32_e32 v104, v1
	v_pk_add_f32 v[136:137], v[0:1], v[104:105]
	s_mov_b32 s0, 0x3f737871
	s_mov_b32 s1, s5
	v_pk_add_f32 v[0:1], v[96:97], v[100:101]
	v_pk_add_f32 v[154:155], v[102:103], v[16:17] neg_lo:[0,1] neg_hi:[0,1]
	v_pk_fma_f32 v[0:1], v[0:1], 0.5, v[98:99] op_sel_hi:[1,0,1] neg_lo:[1,0,0] neg_hi:[1,0,0]
	v_pk_mul_f32 v[104:105], v[154:155], s[0:1] op_sel_hi:[1,0]
	v_mov_b32_e32 v81, v10
	v_pk_add_f32 v[160:161], v[104:105], v[0:1] op_sel:[1,0] op_sel_hi:[0,1]
	v_pk_add_f32 v[138:139], v[0:1], v[104:105] op_sel:[0,1] op_sel_hi:[1,0] neg_lo:[0,1] neg_hi:[0,1]
	v_pk_add_f32 v[0:1], v[102:103], v[100:101] neg_lo:[0,1] neg_hi:[0,1]
	v_pk_add_f32 v[104:105], v[16:17], v[96:97] neg_lo:[0,1] neg_hi:[0,1]
	v_mov_b32_e32 v77, v78
	v_pk_add_f32 v[162:163], v[104:105], v[0:1]
	v_pk_add_f32 v[0:1], v[80:81], v[76:77] neg_lo:[0,1] neg_hi:[0,1]
	v_pk_add_f32 v[112:113], v[20:21], v[12:13]
	v_mov_b32_e32 v104, v1
	v_pk_add_f32 v[140:141], v[0:1], v[104:105]
	v_pk_add_f32 v[0:1], v[20:21], v[12:13] op_sel_hi:[0,1] neg_lo:[0,1] neg_hi:[0,1]
	v_mov_b32_e32 v113, v1
	v_mov_b32_e32 v0, v7
	;; [unrolled: 1-line block ×5, first 2 shown]
	v_pk_add_f32 v[0:1], v[0:1], v[104:105] neg_lo:[0,1] neg_hi:[0,1]
	v_pk_add_f32 v[104:105], v[6:7], v[86:87] neg_lo:[0,1] neg_hi:[0,1]
	;; [unrolled: 1-line block ×3, first 2 shown]
	v_mov_b32_e32 v105, v104
	v_mov_b32_e32 v104, v0
	;; [unrolled: 1-line block ×4, first 2 shown]
	v_pk_add_f32 v[118:119], v[104:105], v[0:1]
	v_pk_add_f32 v[104:105], v[86:87], v[84:85]
	v_pk_add_f32 v[152:153], v[88:89], v[6:7] neg_lo:[0,1] neg_hi:[0,1]
	v_pk_add_f32 v[130:131], v[84:85], v[86:87] neg_lo:[0,1] neg_hi:[0,1]
	v_pk_fma_f32 v[156:157], v[104:105], 0.5, v[82:83] op_sel_hi:[1,0,1] neg_lo:[1,0,0] neg_hi:[1,0,0]
	v_mov_b32_e32 v0, v152
	v_mov_b32_e32 v1, v130
	;; [unrolled: 1-line block ×3, first 2 shown]
	v_pk_fma_f32 v[104:105], v[0:1], s[0:1], v[104:105] neg_lo:[1,0,0] neg_hi:[1,0,0]
	v_mul_f32_e32 v41, 0x3f167918, v131
	v_mov_b32_e32 v25, v104
	v_pk_fma_f32 v[120:121], v[0:1], s[0:1], v[24:25] neg_lo:[1,0,0] neg_hi:[1,0,0]
	v_pk_mul_f32 v[0:1], v[0:1], s[0:1]
	v_mul_f32_e32 v104, 0x3f737871, v153
	v_mov_b32_e32 v105, v0
	v_pk_add_f32 v[104:105], v[156:157], v[104:105] neg_lo:[0,1] neg_hi:[0,1]
	v_pk_add_f32 v[106:107], v[156:157], v[0:1] op_sel:[0,1] op_sel_hi:[1,0]
	v_mov_b32_e32 v105, v41
	v_mov_b32_e32 v106, v107
	;; [unrolled: 1-line block ×4, first 2 shown]
	v_pk_add_f32 v[114:115], v[106:107], v[0:1] op_sel:[0,1] op_sel_hi:[1,0]
	v_pk_add_f32 v[0:1], v[106:107], v[104:105] neg_lo:[0,1] neg_hi:[0,1]
	s_waitcnt vmcnt(1)
	v_mov_b32_e32 v29, v4
	v_mov_b32_e32 v25, v26
	;; [unrolled: 1-line block ×3, first 2 shown]
	v_pk_add_f32 v[0:1], v[28:29], v[24:25] neg_lo:[0,1] neg_hi:[0,1]
	v_mov_b32_e32 v106, v31
	v_mov_b32_e32 v104, v1
	v_pk_add_f32 v[170:171], v[0:1], v[104:105]
	v_pk_add_f32 v[0:1], v[14:15], v[8:9]
	v_pk_add_f32 v[104:105], v[14:15], v[8:9] op_sel_hi:[0,1] neg_lo:[0,1] neg_hi:[0,1]
	v_mov_b32_e32 v1, v105
	s_waitcnt vmcnt(0)
	v_mov_b32_e32 v104, v3
	v_mov_b32_e32 v105, v69
	;; [unrolled: 1-line block ×3, first 2 shown]
	v_pk_add_f32 v[104:105], v[104:105], v[106:107] neg_lo:[0,1] neg_hi:[0,1]
	v_pk_add_f32 v[106:107], v[2:3], v[30:31] neg_lo:[0,1] neg_hi:[0,1]
	;; [unrolled: 1-line block ×3, first 2 shown]
	v_pk_add_f32 v[110:111], v[30:31], v[70:71]
	v_mov_b32_e32 v107, v106
	v_mov_b32_e32 v106, v104
	;; [unrolled: 1-line block ×4, first 2 shown]
	v_pk_add_f32 v[144:145], v[68:69], v[2:3] neg_lo:[0,1] neg_hi:[0,1]
	v_pk_add_f32 v[108:109], v[70:71], v[30:31] neg_lo:[0,1] neg_hi:[0,1]
	v_pk_fma_f32 v[146:147], v[110:111], 0.5, v[72:73] op_sel_hi:[1,0,1] neg_lo:[1,0,0] neg_hi:[1,0,0]
	v_pk_add_f32 v[106:107], v[106:107], v[104:105]
	v_mov_b32_e32 v104, v144
	v_mov_b32_e32 v105, v108
	;; [unrolled: 1-line block ×3, first 2 shown]
	v_pk_fma_f32 v[110:111], v[104:105], s[0:1], v[110:111] neg_lo:[1,0,0] neg_hi:[1,0,0]
	v_mul_f32_e32 v116, 0x3f737871, v145
	v_mov_b32_e32 v39, v110
	v_pk_fma_f32 v[110:111], v[104:105], s[0:1], v[38:39] neg_lo:[1,0,0] neg_hi:[1,0,0]
	v_pk_mul_f32 v[104:105], v[104:105], s[0:1]
	v_mul_f32_e32 v39, 0x3f167918, v109
	v_mov_b32_e32 v117, v104
	v_pk_add_f32 v[116:117], v[146:147], v[116:117] neg_lo:[0,1] neg_hi:[0,1]
	v_pk_add_f32 v[122:123], v[146:147], v[104:105] op_sel:[0,1] op_sel_hi:[1,0]
	v_mov_b32_e32 v117, v39
	v_mov_b32_e32 v122, v123
	;; [unrolled: 1-line block ×4, first 2 shown]
	v_pk_add_f32 v[124:125], v[122:123], v[104:105] op_sel:[0,1] op_sel_hi:[1,0]
	v_pk_add_f32 v[104:105], v[122:123], v[116:117] neg_lo:[0,1] neg_hi:[0,1]
	s_mov_b32 s4, 0x3e9e377a
	v_mov_b32_e32 v125, v105
	v_pk_add_f32 v[104:105], v[4:5], v[26:27] neg_lo:[0,1] neg_hi:[0,1]
	v_pk_mul_f32 v[158:159], v[106:107], s[4:5] op_sel_hi:[1,0]
	v_mov_b32_e32 v104, v9
	v_pk_add_f32 v[104:105], v[0:1], v[104:105]
	v_pk_add_f32 v[0:1], v[68:69], v[72:73]
	v_pk_add_f32 v[116:117], v[30:31], v[2:3] neg_lo:[0,1] neg_hi:[0,1]
	v_mov_b32_e32 v110, v1
	v_pk_fma_f32 v[0:1], v[106:107], s[4:5], v[124:125] op_sel_hi:[1,0,1]
	v_mov_b32_e32 v106, v71
	v_mov_b32_e32 v107, v158
	v_pk_add_f32 v[106:107], v[106:107], v[110:111]
	v_pk_add_f32 v[110:111], v[70:71], v[68:69] neg_lo:[0,1] neg_hi:[0,1]
	v_pk_mul_f32 v[108:109], v[108:109], s[0:1] op_sel_hi:[1,0]
	v_pk_add_f32 v[110:111], v[116:117], v[110:111]
	v_pk_add_f32 v[116:117], v[2:3], v[68:69]
	s_mov_b32 s10, s5
	v_pk_fma_f32 v[116:117], v[116:117], 0.5, v[72:73] op_sel_hi:[1,0,1] neg_lo:[1,0,0] neg_hi:[1,0,0]
	v_pk_mul_f32 v[178:179], v[118:119], s[4:5] op_sel_hi:[1,0]
	v_pk_add_f32 v[122:123], v[108:109], v[116:117] op_sel:[1,0] op_sel_hi:[0,1]
	v_pk_add_f32 v[108:109], v[116:117], v[108:109] op_sel:[0,1] op_sel_hi:[1,0] neg_lo:[0,1] neg_hi:[0,1]
	v_pk_mul_f32 v[116:117], v[144:145], s[10:11] op_sel_hi:[1,0]
	v_pk_fma_f32 v[114:115], v[118:119], s[4:5], v[114:115] op_sel_hi:[1,0,1]
	v_pk_add_f32 v[122:123], v[122:123], v[116:117] op_sel:[0,1] op_sel_hi:[1,0] neg_lo:[0,1] neg_hi:[0,1]
	v_pk_add_f32 v[116:117], v[116:117], v[108:109] op_sel:[1,0] op_sel_hi:[0,1]
	v_pk_fma_f32 v[108:109], v[110:111], s[4:5], v[122:123] op_sel_hi:[1,0,1]
	v_pk_fma_f32 v[110:111], v[110:111], s[4:5], v[116:117] op_sel_hi:[1,0,1]
	v_pk_add_f32 v[116:117], v[10:11], v[78:79] neg_lo:[0,1] neg_hi:[0,1]
	v_add_f32_e32 v43, v74, v19
	v_mov_b32_e32 v116, v13
	v_pk_add_f32 v[116:117], v[112:113], v[116:117]
	v_pk_add_f32 v[112:113], v[88:89], v[82:83]
	v_pk_add_f32 v[174:175], v[90:91], v[94:95] neg_lo:[0,1] neg_hi:[0,1]
	v_mov_b32_e32 v120, v113
	v_mov_b32_e32 v112, v85
	;; [unrolled: 1-line block ×3, first 2 shown]
	v_pk_add_f32 v[118:119], v[112:113], v[120:121]
	v_pk_add_f32 v[112:113], v[84:85], v[88:89] neg_lo:[0,1] neg_hi:[0,1]
	v_pk_add_f32 v[120:121], v[86:87], v[6:7] neg_lo:[0,1] neg_hi:[0,1]
	v_mov_b32_e32 v95, v22
	v_pk_add_f32 v[132:133], v[120:121], v[112:113]
	v_mul_f32_e32 v113, 0.5, v43
	v_mov_b32_e32 v112, v18
	v_pk_add_f32 v[112:113], v[94:95], v[112:113] neg_lo:[0,1] neg_hi:[0,1]
	v_sub_f32_e32 v121, v90, v92
	v_mov_b32_e32 v120, v112
	v_add_f32_e32 v43, v20, v11
	v_pk_mul_f32 v[122:123], v[112:113], s[10:11]
	v_fmamk_f32 v148, v121, 0xbf737871, v113
	v_mul_f32_e32 v165, 0x3f737871, v121
	v_pk_mul_f32 v[134:135], v[120:121], s[0:1]
	v_pk_add_f32 v[176:177], v[76:77], v[80:81] neg_lo:[0,1] neg_hi:[0,1]
	v_mov_b32_e32 v81, v12
	v_mul_f32_e32 v121, 0.5, v43
	v_mov_b32_e32 v120, v10
	v_mov_b32_e32 v149, v122
	;; [unrolled: 1-line block ×3, first 2 shown]
	v_pk_add_f32 v[120:121], v[80:81], v[120:121] neg_lo:[0,1] neg_hi:[0,1]
	v_pk_add_f32 v[150:151], v[112:113], v[164:165]
	v_pk_fma_f32 v[142:143], v[112:113], v[164:165], v[148:149]
	v_sub_f32_e32 v113, v76, v78
	v_pk_mul_f32 v[122:123], v[120:121], s[10:11]
	v_mul_f32_e32 v165, 0x3f737871, v113
	v_mov_b32_e32 v127, v122
	v_fmamk_f32 v126, v113, 0xbf737871, v121
	v_pk_add_f32 v[168:169], v[24:25], v[28:29] neg_lo:[0,1] neg_hi:[0,1]
	v_add_f32_e32 v25, v14, v5
	v_mov_b32_e32 v112, v120
	v_pk_add_f32 v[128:129], v[120:121], v[164:165]
	v_pk_fma_f32 v[124:125], v[120:121], v[164:165], v[126:127]
	v_mov_b32_e32 v29, v8
	v_mul_f32_e32 v121, 0.5, v25
	v_mov_b32_e32 v120, v4
	v_pk_add_f32 v[180:181], v[28:29], v[120:121] neg_lo:[0,1] neg_hi:[0,1]
	v_pk_mul_f32 v[122:123], v[112:113], s[0:1]
	v_sub_f32_e32 v113, v24, v26
	v_mov_b32_e32 v112, v180
	v_pk_mul_f32 v[120:121], v[180:181], s[10:11]
	v_mul_f32_e32 v165, 0x3f737871, v113
	v_mov_b32_e32 v121, v120
	v_fmamk_f32 v120, v113, 0xbf737871, v181
	v_pk_mul_f32 v[112:113], v[112:113], s[0:1]
	s_mov_b32 s1, s4
	v_pk_add_f32 v[166:167], v[6:7], v[88:89]
	v_pk_mul_f32 v[130:131], v[130:131], s[0:1] op_sel_hi:[1,0]
	v_pk_fma_f32 v[166:167], v[166:167], 0.5, v[82:83] op_sel_hi:[1,0,1] neg_lo:[1,0,0] neg_hi:[1,0,0]
	v_pk_add_f32 v[184:185], v[102:103], v[98:99]
	v_pk_add_f32 v[172:173], v[130:131], v[166:167] op_sel:[1,0] op_sel_hi:[0,1]
	v_pk_add_f32 v[130:131], v[166:167], v[130:131] op_sel:[0,1] op_sel_hi:[1,0] neg_lo:[0,1] neg_hi:[0,1]
	v_pk_mul_f32 v[166:167], v[152:153], s[10:11] op_sel_hi:[1,0]
	v_pk_add_f32 v[186:187], v[100:101], v[102:103] neg_lo:[0,1] neg_hi:[0,1]
	v_pk_add_f32 v[172:173], v[172:173], v[166:167] op_sel:[0,1] op_sel_hi:[1,0] neg_lo:[0,1] neg_hi:[0,1]
	v_pk_add_f32 v[166:167], v[166:167], v[130:131] op_sel:[1,0] op_sel_hi:[0,1]
	v_pk_fma_f32 v[130:131], v[132:133], s[4:5], v[172:173] op_sel_hi:[1,0,1]
	v_pk_add_f32 v[172:173], v[100:101], v[96:97] neg_lo:[0,1] neg_hi:[0,1]
	v_pk_fma_f32 v[132:133], v[132:133], s[4:5], v[166:167] op_sel_hi:[1,0,1]
	v_pk_mul_f32 v[166:167], v[172:173], s[10:11] op_sel_hi:[1,0]
	v_pk_mul_f32 v[172:173], v[172:173], s[0:1] op_sel_hi:[1,0]
	v_pk_add_f32 v[182:183], v[138:139], v[166:167] op_sel:[0,1] op_sel_hi:[1,0] neg_lo:[0,1] neg_hi:[0,1]
	v_pk_add_f32 v[138:139], v[160:161], v[166:167] op_sel:[0,1] op_sel_hi:[1,0]
	v_mov_b32_e32 v161, v160
	v_mov_b32_e32 v138, v182
	v_mov_b32_e32 v182, v185
	v_pk_mul_f32 v[184:185], v[162:163], s[4:5] op_sel_hi:[1,0]
	v_pk_fma_f32 v[138:139], v[162:163], s[4:5], v[138:139] op_sel_hi:[1,0,1]
	v_mov_b32_e32 v162, v101
	v_mov_b32_e32 v163, v185
	v_pk_add_f32 v[162:163], v[162:163], v[182:183]
	v_pk_add_f32 v[182:183], v[16:17], v[102:103]
	v_mov_b32_e32 v103, v167
	v_mov_b32_e32 v160, v98
	v_pk_add_f32 v[102:103], v[102:103], v[160:161]
	v_mov_b32_e32 v101, v184
	v_mov_b32_e32 v161, 0x3f4f1bbd
	v_mov_b32_e32 v160, v31
	v_pk_add_f32 v[166:167], v[100:101], v[102:103]
	v_pk_add_f32 v[100:101], v[160:161], v[106:107]
	v_mov_b32_e32 v160, v87
	v_pk_add_f32 v[102:103], v[160:161], v[118:119]
	v_mov_b32_e32 v160, v97
	v_pk_add_f32 v[184:185], v[96:97], v[16:17] neg_lo:[0,1] neg_hi:[0,1]
	v_mov_b32_e32 v97, v161
	v_pk_add_f32 v[188:189], v[96:97], v[166:167]
	v_pk_mul_f32 v[96:97], v[96:97], v[166:167]
	v_pk_mul_f32 v[154:155], v[154:155], s[10:11] op_sel_hi:[1,0]
	v_mov_b32_e32 v189, v97
	v_mul_f32_e32 v97, 0x3f167918, v163
	v_mov_b32_e32 v96, v16
	v_pk_add_f32 v[188:189], v[96:97], v[188:189]
	v_pk_fma_f32 v[96:97], v[182:183], 0.5, v[98:99] op_sel_hi:[1,0,1] neg_lo:[1,0,0] neg_hi:[1,0,0]
	v_add_f32_e32 v16, v90, v92
	v_pk_add_f32 v[182:183], v[172:173], v[96:97] op_sel:[1,0] op_sel_hi:[0,1]
	v_pk_add_f32 v[96:97], v[96:97], v[172:173] op_sel:[0,1] op_sel_hi:[1,0] neg_lo:[0,1] neg_hi:[0,1]
	v_pk_add_f32 v[98:99], v[184:185], v[186:187]
	v_pk_add_f32 v[172:173], v[182:183], v[154:155] op_sel:[0,1] op_sel_hi:[1,0] neg_lo:[0,1] neg_hi:[0,1]
	v_pk_add_f32 v[96:97], v[154:155], v[96:97] op_sel:[1,0] op_sel_hi:[0,1]
	v_mul_f32_e32 v95, 0.5, v16
	v_mov_b32_e32 v16, v75
	v_pk_fma_f32 v[154:155], v[98:99], s[4:5], v[172:173] op_sel_hi:[1,0,1]
	v_pk_fma_f32 v[172:173], v[98:99], s[4:5], v[96:97] op_sel_hi:[1,0,1]
	v_pk_add_f32 v[98:99], v[16:17], v[94:95] op_sel_hi:[0,1]
	v_pk_add_f32 v[182:183], v[16:17], v[94:95] op_sel_hi:[0,1] neg_lo:[0,1] neg_hi:[0,1]
	v_add_f32_e32 v16, v94, v18
	v_mul_f32_e32 v97, 0.5, v16
	v_mov_b32_e32 v96, v19
	v_pk_add_f32 v[94:95], v[22:23], v[92:93] neg_lo:[0,1] neg_hi:[0,1]
	v_pk_add_f32 v[184:185], v[74:75], v[96:97] neg_lo:[0,1] neg_hi:[0,1]
	v_mul_f32_e32 v16, 0x3f737871, v95
	v_pk_mul_f32 v[96:97], v[184:185], s[10:11]
	v_mov_b32_e32 v137, v95
	v_mov_b32_e32 v187, v96
	v_fmamk_f32 v186, v95, 0xbf737871, v185
	v_pk_add_f32 v[96:97], v[180:181], v[164:165]
	v_pk_fma_f32 v[94:95], v[180:181], v[164:165], v[120:121]
	v_mov_b32_e32 v165, v16
	v_pk_add_f32 v[180:181], v[184:185], v[164:165]
	v_mov_b32_e32 v99, v183
	v_pk_add_f32 v[180:181], v[180:181], v[186:187] neg_lo:[0,1] neg_hi:[0,1]
	v_pk_fma_f32 v[186:187], v[184:185], v[164:165], v[186:187]
	v_mul_f32_e32 v91, 0x3f737871, v184
	v_pk_mul_f32 v[190:191], v[136:137], s[4:5]
	v_mov_b32_e32 v137, 0x3e9e377a
	v_mov_b32_e32 v136, v27
	;; [unrolled: 1-line block ×3, first 2 shown]
	v_pk_add_f32 v[180:181], v[98:99], v[90:91]
	v_pk_add_f32 v[90:91], v[104:105], v[136:137]
	v_mov_b32_e32 v136, v79
	v_add_f32_e32 v16, v174, v175
	v_pk_add_f32 v[98:99], v[116:117], v[136:137]
	v_mov_b32_e32 v136, v93
	v_add_f32_e32 v43, v23, v93
	v_pk_add_f32 v[174:175], v[18:19], v[92:93] neg_lo:[0,1] neg_hi:[0,1]
	v_mov_b32_e32 v147, v93
	v_mov_b32_e32 v93, v191
	v_pk_add_f32 v[92:93], v[180:181], v[92:93]
	v_mov_b32_e32 v180, v18
	v_mov_b32_e32 v181, v190
	v_pk_add_f32 v[92:93], v[92:93], v[180:181]
	v_pk_add_f32 v[192:193], v[12:13], v[78:79] neg_lo:[0,1] neg_hi:[0,1]
	v_pk_add_f32 v[180:181], v[8:9], v[26:27] neg_lo:[0,1] neg_hi:[0,1]
	v_mov_b32_e32 v141, v193
	v_mov_b32_e32 v171, v181
	v_mul_f32_e32 v16, 0x3e9e377a, v16
	s_mov_b32 s13, s5
	v_pk_mul_f32 v[194:195], v[140:141], s[4:5]
	s_mov_b32 s14, s5
	v_pk_mul_f32 v[170:171], v[170:171], s[4:5]
	s_mov_b32 s5, s0
	v_fmac_f32_e32 v183, 0xbf737871, v184
	s_mov_b32 s12, 0x3f4f1bbd
	v_pk_add_f32 v[186:187], v[16:17], v[186:187] op_sel_hi:[0,1]
	v_pk_mul_f32 v[140:141], v[154:155], s[4:5]
	v_sub_f32_e32 v16, v183, v191
	v_pk_mul_f32 v[182:183], v[138:139], s[12:13]
	v_pk_fma_f32 v[196:197], v[172:173], s[4:5], v[140:141] op_sel:[0,0,1] op_sel_hi:[1,1,0]
	v_mov_b32_e32 v18, v183
	v_pk_add_f32 v[198:199], v[92:93], v[188:189]
	v_mov_b32_e32 v185, v196
	v_mov_b32_e32 v184, v189
	v_pk_add_f32 v[188:189], v[92:93], v[188:189] neg_lo:[0,1] neg_hi:[0,1]
	v_mov_b32_e32 v92, v93
	v_mov_b32_e32 v93, v186
	v_add_f32_e32 v16, v190, v16
	v_pk_fma_f32 v[182:183], v[138:139], s[12:13], v[18:19] neg_lo:[1,0,0] neg_hi:[1,0,0]
	v_pk_add_f32 v[92:93], v[92:93], v[184:185] neg_lo:[0,1] neg_hi:[0,1]
	v_pk_add_f32 v[184:185], v[16:17], v[182:183]
	v_pk_fma_f32 v[140:141], v[172:173], s[4:5], v[140:141] op_sel:[0,0,1] op_sel_hi:[1,1,0] neg_lo:[0,0,1] neg_hi:[0,0,1]
	v_mad_u32_u24 v91, v32, 40, 0
	v_mov_b32_e32 v185, v188
	v_mov_b32_e32 v197, v141
	ds_write2_b64 v91, v[184:185], v[92:93] offset0:2 offset1:3
	v_fmamk_f32 v83, v153, 0x3f737871, v156
	v_mov_b32_e32 v92, v187
	v_mov_b32_e32 v93, v16
	;; [unrolled: 1-line block ×5, first 2 shown]
	v_pk_add_f32 v[92:93], v[92:93], v[140:141] neg_lo:[0,1] neg_hi:[0,1]
	v_pk_add_f32 v[82:83], v[88:89], v[82:83]
	v_mov_b32_e32 v85, v179
	ds_write_b64 v91, v[92:93] offset:32
	v_pk_add_f32 v[92:93], v[84:85], v[82:83]
	v_mov_b32_e32 v87, v161
	v_pk_mul_f32 v[84:85], v[86:87], v[92:93]
	v_pk_add_f32 v[82:83], v[86:87], v[92:93]
	v_mov_b32_e32 v84, v6
	v_add_f32_e32 v6, v76, v78
	v_mov_b32_e32 v83, v85
	v_mul_f32_e32 v85, 0x3f167918, v119
	v_mul_f32_e32 v81, 0.5, v6
	v_mov_b32_e32 v6, v21
	v_pk_add_f32 v[82:83], v[84:85], v[82:83]
	v_pk_add_f32 v[84:85], v[6:7], v[80:81] op_sel_hi:[0,1]
	v_pk_add_f32 v[86:87], v[6:7], v[80:81] op_sel_hi:[0,1] neg_lo:[0,1] neg_hi:[0,1]
	v_add_f32_e32 v6, v80, v10
	v_mul_f32_e32 v81, 0.5, v6
	v_mov_b32_e32 v80, v11
	v_pk_add_f32 v[80:81], v[20:21], v[80:81] neg_lo:[0,1] neg_hi:[0,1]
	v_mul_f32_e32 v165, 0x3f737871, v193
	v_pk_mul_f32 v[88:89], v[80:81], s[10:11]
	v_pk_add_f32 v[140:141], v[80:81], v[164:165]
	v_mov_b32_e32 v89, v88
	v_fmamk_f32 v88, v193, 0xbf737871, v81
	v_pk_add_f32 v[140:141], v[140:141], v[88:89] neg_lo:[0,1] neg_hi:[0,1]
	v_pk_fma_f32 v[88:89], v[80:81], v[164:165], v[88:89]
	v_mov_b32_e32 v85, v87
	v_mul_f32_e32 v77, 0x3f737871, v80
	v_mov_b32_e32 v89, v141
	v_pk_add_f32 v[76:77], v[84:85], v[76:77]
	v_add_f32_e32 v92, v13, v79
	v_mov_b32_e32 v141, v79
	v_mov_b32_e32 v79, v195
	v_add_f32_e32 v6, v176, v177
	v_pk_add_f32 v[76:77], v[76:77], v[78:79]
	v_mov_b32_e32 v78, v10
	v_mov_b32_e32 v79, v194
	v_fmamk_f32 v73, v145, 0x3f737871, v146
	v_mov_b32_e32 v69, v39
	v_mul_f32_e32 v6, 0x3e9e377a, v6
	v_pk_add_f32 v[76:77], v[76:77], v[78:79]
	v_pk_mul_f32 v[78:79], v[130:131], s[4:5]
	v_pk_add_f32 v[68:69], v[68:69], v[72:73]
	v_mov_b32_e32 v71, v159
	v_pk_add_f32 v[88:89], v[6:7], v[88:89] op_sel_hi:[0,1]
	v_pk_fma_f32 v[84:85], v[132:133], s[4:5], v[78:79] op_sel:[0,0,1] op_sel_hi:[1,1,0]
	v_pk_add_f32 v[144:145], v[70:71], v[68:69]
	v_mov_b32_e32 v31, v161
	v_pk_add_f32 v[156:157], v[76:77], v[82:83]
	v_fmac_f32_e32 v87, 0xbf737871, v80
	v_mov_b32_e32 v81, v84
	v_mov_b32_e32 v80, v83
	v_pk_add_f32 v[82:83], v[76:77], v[82:83] neg_lo:[0,1] neg_hi:[0,1]
	v_mov_b32_e32 v76, v77
	v_mov_b32_e32 v77, v88
	s_mov_b32 s15, s12
	v_pk_add_f32 v[68:69], v[30:31], v[144:145]
	v_pk_mul_f32 v[30:31], v[30:31], v[144:145]
	v_pk_add_f32 v[76:77], v[76:77], v[80:81] neg_lo:[0,1] neg_hi:[0,1]
	v_pk_mul_f32 v[80:81], v[114:115], s[14:15]
	v_mov_b32_e32 v30, v2
	v_add_f32_e32 v2, v24, v26
	v_pk_fma_f32 v[78:79], v[132:133], s[4:5], v[78:79] op_sel:[0,0,1] op_sel_hi:[1,1,0] neg_lo:[0,0,1] neg_hi:[0,0,1]
	v_sub_f32_e32 v6, v87, v195
	v_mov_b32_e32 v10, v81
	v_mov_b32_e32 v69, v31
	v_mul_f32_e32 v31, 0x3f167918, v107
	v_mul_f32_e32 v29, 0.5, v2
	v_mov_b32_e32 v2, v15
	v_mov_b32_e32 v85, v79
	v_add_f32_e32 v6, v194, v6
	v_pk_fma_f32 v[80:81], v[114:115], s[14:15], v[10:11] neg_lo:[0,0,1] neg_hi:[0,0,1]
	v_pk_add_f32 v[30:31], v[30:31], v[68:69]
	v_pk_add_f32 v[68:69], v[2:3], v[28:29] op_sel_hi:[0,1]
	v_pk_add_f32 v[70:71], v[2:3], v[28:29] op_sel_hi:[0,1] neg_lo:[0,1] neg_hi:[0,1]
	v_add_f32_e32 v2, v28, v4
	v_pk_add_f32 v[152:153], v[88:89], v[84:85]
	v_pk_add_f32 v[84:85], v[6:7], v[80:81]
	v_mul_f32_e32 v29, 0.5, v2
	v_mov_b32_e32 v28, v5
	v_pk_add_f32 v[200:201], v[186:187], v[196:197]
	v_mad_i32_i24 v101, v48, 40, 0
	v_mov_b32_e32 v85, v82
	v_pk_add_f32 v[28:29], v[14:15], v[28:29] neg_lo:[0,1] neg_hi:[0,1]
	ds_write2_b64 v91, v[198:199], v[200:201] offset1:1
	ds_write2_b64 v101, v[84:85], v[76:77] offset0:2 offset1:3
	v_mov_b32_e32 v76, v89
	v_mov_b32_e32 v77, v6
	;; [unrolled: 1-line block ×4, first 2 shown]
	v_pk_mul_f32 v[72:73], v[28:29], s[10:11]
	v_pk_add_f32 v[76:77], v[76:77], v[78:79] neg_lo:[0,1] neg_hi:[0,1]
	v_mov_b32_e32 v73, v72
	v_fmamk_f32 v72, v181, 0xbf737871, v29
	v_mul_f32_e32 v165, 0x3f737871, v181
	v_mov_b32_e32 v69, v71
	v_mul_f32_e32 v25, 0x3f737871, v28
	ds_write_b64 v101, v[76:77] offset:32
	v_pk_add_f32 v[76:77], v[28:29], v[164:165]
	v_pk_fma_f32 v[78:79], v[28:29], v[164:165], v[72:73]
	v_pk_add_f32 v[24:25], v[68:69], v[24:25]
	v_add_f32_e32 v164, v9, v27
	v_mov_b32_e32 v21, v27
	v_mov_b32_e32 v27, v171
	v_pk_add_f32 v[72:73], v[76:77], v[72:73] neg_lo:[0,1] neg_hi:[0,1]
	v_add_f32_e32 v2, v168, v169
	v_pk_add_f32 v[24:25], v[24:25], v[26:27]
	v_mov_b32_e32 v26, v4
	v_mov_b32_e32 v27, v170
	;; [unrolled: 1-line block ×3, first 2 shown]
	v_mul_f32_e32 v2, 0x3e9e377a, v2
	v_pk_add_f32 v[24:25], v[24:25], v[26:27]
	v_pk_mul_f32 v[26:27], v[108:109], s[4:5]
	v_pk_add_f32 v[72:73], v[2:3], v[78:79] op_sel_hi:[0,1]
	v_pk_fma_f32 v[68:69], v[110:111], s[4:5], v[26:27] op_sel:[0,0,1] op_sel_hi:[1,1,0]
	v_pk_add_f32 v[78:79], v[24:25], v[30:31]
	v_fmac_f32_e32 v71, 0xbf737871, v28
	v_mov_b32_e32 v29, v68
	v_mov_b32_e32 v28, v31
	v_pk_add_f32 v[30:31], v[24:25], v[30:31] neg_lo:[0,1] neg_hi:[0,1]
	v_mov_b32_e32 v24, v25
	v_mov_b32_e32 v25, v72
	v_pk_add_f32 v[24:25], v[24:25], v[28:29] neg_lo:[0,1] neg_hi:[0,1]
	v_pk_mul_f32 v[28:29], v[0:1], s[14:15]
	v_pk_fma_f32 v[26:27], v[110:111], s[4:5], v[26:27] op_sel:[0,0,1] op_sel_hi:[1,1,0] neg_lo:[0,0,1] neg_hi:[0,0,1]
	v_sub_f32_e32 v2, v71, v171
	v_mov_b32_e32 v4, v29
	v_mov_b32_e32 v69, v27
	v_add_f32_e32 v2, v170, v2
	v_pk_fma_f32 v[28:29], v[0:1], s[14:15], v[4:5] neg_lo:[0,0,1] neg_hi:[0,0,1]
	v_pk_add_f32 v[76:77], v[72:73], v[68:69]
	v_pk_add_f32 v[68:69], v[2:3], v[28:29]
	v_mad_i32_i24 v103, v50, 40, 0
	v_mov_b32_e32 v69, v30
	ds_write2_b64 v101, v[156:157], v[152:153] offset1:1
	ds_write2_b64 v103, v[68:69], v[24:25] offset0:2 offset1:3
	v_pk_add_f32 v[24:25], v[74:75], v[22:23]
	v_pk_add_f32 v[30:31], v[74:75], v[22:23] op_sel_hi:[0,1] neg_lo:[0,1] neg_hi:[0,1]
	v_mov_b32_e32 v25, v31
	v_mov_b32_e32 v174, v23
	v_pk_add_f32 v[68:69], v[150:151], v[148:149] neg_lo:[0,1] neg_hi:[0,1]
	v_pk_add_f32 v[24:25], v[24:25], v[174:175]
	v_fmac_f32_e32 v22, -0.5, v43
	s_mov_b32 s11, s4
	v_mov_b32_e32 v143, v69
	v_sub_f32_e32 v4, v22, v134
	v_pk_add_f32 v[68:69], v[24:25], v[136:137]
	v_pk_mul_f32 v[24:25], v[24:25], s[10:11]
	v_mov_b32_e32 v146, v23
	v_mov_b32_e32 v75, v19
	;; [unrolled: 1-line block ×3, first 2 shown]
	v_sub_f32_e32 v19, v4, v135
	v_mov_b32_e32 v69, v25
	v_pk_add_f32 v[30:31], v[146:147], v[74:75] neg_lo:[0,1] neg_hi:[0,1]
	v_pk_add_f32 v[18:19], v[68:69], v[18:19]
	v_mul_f32_e32 v69, 0x3f167918, v167
	v_mov_b32_e32 v68, v17
	s_mov_b32 s5, s12
	v_pk_add_f32 v[16:17], v[160:161], v[162:163]
	v_pk_fma_f32 v[156:157], v[162:163], s[4:5], v[68:69] neg_lo:[0,0,1] neg_hi:[0,0,1]
	v_pk_add_f32 v[16:17], v[16:17], v[68:69]
	v_add_f32_e32 v4, v30, v31
	s_mov_b32 s12, 0xbf737871
	s_mov_b32 s13, s4
	v_pk_mul_f32 v[68:69], v[172:173], s[0:1]
	v_mul_f32_e32 v4, 0x3e9e377a, v4
	v_pk_fma_f32 v[158:159], v[154:155], s[12:13], v[68:69] op_sel:[0,0,1] op_sel_hi:[1,1,0] neg_lo:[0,0,1] neg_hi:[0,0,1]
	v_mov_b32_e32 v68, v73
	v_mov_b32_e32 v69, v2
	;; [unrolled: 1-line block ×4, first 2 shown]
	v_pk_add_f32 v[30:31], v[4:5], v[142:143] op_sel_hi:[0,1]
	v_pk_add_f32 v[26:27], v[68:69], v[26:27] neg_lo:[0,1] neg_hi:[0,1]
	s_movk_i32 s4, 0xffdc
	v_add_f32_e32 v2, v22, v134
	ds_write_b64 v103, v[26:27] offset:32
	v_pk_add_f32 v[26:27], v[30:31], v[158:159]
	v_mov_b32_e32 v17, v157
	v_mad_i32_i24 v120, v32, s4, v91
	v_mad_i32_i24 v45, v48, s4, v101
	;; [unrolled: 1-line block ×3, first 2 shown]
	v_add_f32_e32 v2, v135, v2
	s_mov_b32 s4, 0xbf167918
	v_mul_f32_e32 v4, 0x3f4f1bbd, v139
	v_mov_b32_e32 v160, v27
	v_mov_b32_e32 v161, v26
	v_pk_add_f32 v[26:27], v[18:19], v[16:17]
	v_fma_f32 v22, v138, s4, -v4
	v_mov_b32_e32 v23, v16
	v_add_f32_e32 v16, v25, v2
	v_lshl_add_u32 v126, v62, 2, 0
	v_mov_b32_e32 v17, v18
	v_mov_b32_e32 v18, v19
	;; [unrolled: 1-line block ×7, first 2 shown]
	ds_write2_b64 v103, v[78:79], v[76:77] offset1:1
	s_load_dwordx2 s[2:3], s[2:3], 0x0
	s_waitcnt lgkmcnt(0)
	s_barrier
	v_lshl_add_u32 v136, v44, 2, 0
	v_lshl_add_u32 v143, v51, 2, 0
	;; [unrolled: 1-line block ×3, first 2 shown]
	v_add_u32_e32 v146, 0x1400, v120
	v_add_u32_e32 v137, 0x1c00, v120
	;; [unrolled: 1-line block ×9, first 2 shown]
	ds_read_b32 v154, v126
	ds_read_b32 v153, v136
	;; [unrolled: 1-line block ×3, first 2 shown]
	v_add_u32_e32 v55, 0x1a00, v120
	v_add_u32_e32 v41, 0x2800, v120
	ds_read_b32 v151, v43
	ds_read_b32 v152, v45
	ds_read_b32 v149, v144
	ds_read2st64_b32 v[68:69], v120 offset1:9
	ds_read2_b32 v[76:77], v146 offset0:64 offset1:160
	ds_read2_b32 v[86:87], v137 offset0:128 offset1:224
	ds_read2_b32 v[78:79], v39 offset1:96
	ds_read2st64_b32 v[74:75], v53 offset0:13 offset1:16
	ds_read2_b32 v[84:85], v142 offset1:96
	ds_read2_b32 v[72:73], v47 offset0:64 offset1:160
	ds_read2_b32 v[28:29], v148 offset0:32 offset1:128
	;; [unrolled: 1-line block ×6, first 2 shown]
	s_waitcnt lgkmcnt(0)
	s_barrier
	ds_write2_b64 v91, v[26:27], v[160:161] offset1:1
	v_pk_add_f32 v[18:19], v[18:19], v[24:25] neg_lo:[0,1] neg_hi:[0,1]
	v_pk_add_f32 v[24:25], v[16:17], v[22:23]
	v_pk_add_f32 v[26:27], v[16:17], v[22:23] neg_lo:[0,1] neg_hi:[0,1]
	v_pk_add_f32 v[16:17], v[30:31], v[158:159] neg_lo:[0,1] neg_hi:[0,1]
	ds_write_b64 v91, v[16:17] offset:32
	v_mov_b32_e32 v140, v13
	v_mov_b32_e32 v16, v20
	;; [unrolled: 1-line block ×3, first 2 shown]
	v_fmac_f32_e32 v12, -0.5, v92
	v_mov_b32_e32 v25, v27
	v_pk_add_f32 v[16:17], v[140:141], v[16:17] neg_lo:[0,1] neg_hi:[0,1]
	v_sub_f32_e32 v2, v12, v122
	ds_write2_b64 v91, v[24:25], v[18:19] offset0:2 offset1:3
	v_pk_add_f32 v[18:19], v[128:129], v[126:127] neg_lo:[0,1] neg_hi:[0,1]
	v_mov_b32_e32 v10, v11
	v_sub_f32_e32 v11, v2, v123
	v_add_f32_e32 v2, v16, v17
	v_mov_b32_e32 v125, v19
	v_mul_f32_e32 v2, 0x3e9e377a, v2
	v_pk_mul_f32 v[18:19], v[116:117], s[10:11]
	v_pk_add_f32 v[16:17], v[2:3], v[124:125] op_sel_hi:[0,1]
	v_pk_mul_f32 v[22:23], v[132:133], s[0:1]
	v_mul_f32_e32 v25, 0x3f167918, v93
	v_mov_b32_e32 v24, v7
	v_mov_b32_e32 v2, v7
	;; [unrolled: 1-line block ×3, first 2 shown]
	v_pk_fma_f32 v[22:23], v[130:131], s[12:13], v[22:23] op_sel:[0,0,1] op_sel_hi:[1,1,0] neg_lo:[0,0,1] neg_hi:[0,0,1]
	v_pk_add_f32 v[6:7], v[102:103], v[2:3]
	v_pk_fma_f32 v[24:25], v[118:119], s[4:5], v[24:25] neg_lo:[0,0,1] neg_hi:[0,0,1]
	v_add_f32_e32 v2, v12, v122
	v_pk_add_f32 v[10:11], v[98:99], v[10:11]
	v_pk_add_f32 v[26:27], v[16:17], v[22:23]
	v_mov_b32_e32 v7, v25
	v_add_f32_e32 v2, v123, v2
	v_mul_f32_e32 v4, 0x3f4f1bbd, v114
	v_mov_b32_e32 v30, v27
	v_mov_b32_e32 v31, v26
	v_pk_add_f32 v[26:27], v[10:11], v[6:7]
	v_fma_f32 v12, v115, s4, -v4
	v_mov_b32_e32 v13, v6
	v_add_f32_e32 v6, v19, v2
	v_mov_b32_e32 v7, v10
	v_mov_b32_e32 v10, v11
	;; [unrolled: 1-line block ×5, first 2 shown]
	v_pk_add_f32 v[10:11], v[10:11], v[18:19] neg_lo:[0,1] neg_hi:[0,1]
	v_pk_add_f32 v[18:19], v[6:7], v[12:13]
	v_pk_add_f32 v[24:25], v[6:7], v[12:13] neg_lo:[0,1] neg_hi:[0,1]
	v_mov_b32_e32 v20, v9
	v_mov_b32_e32 v19, v25
	;; [unrolled: 1-line block ×3, first 2 shown]
	v_fmac_f32_e32 v8, -0.5, v164
	ds_write2_b64 v101, v[18:19], v[10:11] offset0:2 offset1:3
	v_pk_add_f32 v[10:11], v[20:21], v[14:15] neg_lo:[0,1] neg_hi:[0,1]
	v_sub_f32_e32 v2, v8, v112
	v_pk_add_f32 v[14:15], v[96:97], v[120:121] neg_lo:[0,1] neg_hi:[0,1]
	v_mov_b32_e32 v4, v5
	v_sub_f32_e32 v5, v2, v113
	v_add_f32_e32 v2, v10, v11
	v_mov_b32_e32 v95, v15
	v_mul_f32_e32 v2, 0x3e9e377a, v2
	v_pk_mul_f32 v[14:15], v[104:105], s[10:11]
	v_pk_add_f32 v[10:11], v[2:3], v[94:95] op_sel_hi:[0,1]
	v_pk_mul_f32 v[18:19], v[110:111], s[0:1]
	v_mul_f32_e32 v21, 0x3f167918, v145
	v_mov_b32_e32 v20, v3
	v_mov_b32_e32 v2, v3
	;; [unrolled: 1-line block ×5, first 2 shown]
	v_pk_fma_f32 v[18:19], v[108:109], s[12:13], v[18:19] op_sel:[0,0,1] op_sel_hi:[1,1,0] neg_lo:[0,0,1] neg_hi:[0,0,1]
	v_pk_add_f32 v[2:3], v[100:101], v[2:3]
	v_pk_fma_f32 v[20:21], v[106:107], s[4:5], v[20:21] neg_lo:[0,0,1] neg_hi:[0,0,1]
	v_pk_add_f32 v[6:7], v[16:17], v[22:23] neg_lo:[0,1] neg_hi:[0,1]
	v_pk_add_f32 v[4:5], v[90:91], v[4:5]
	ds_write_b64 v101, v[6:7] offset:32
	v_pk_add_f32 v[6:7], v[10:11], v[18:19]
	v_mov_b32_e32 v3, v21
	v_mov_b32_e32 v12, v7
	;; [unrolled: 1-line block ×3, first 2 shown]
	v_pk_add_f32 v[6:7], v[4:5], v[2:3]
	v_add_f32_e32 v3, v8, v112
	v_add_f32_e32 v3, v113, v3
	v_mul_f32_e32 v0, 0x3f4f1bbd, v0
	v_fma_f32 v0, v1, s4, -v0
	v_mov_b32_e32 v1, v2
	v_add_f32_e32 v2, v15, v3
	ds_write2_b64 v101, v[26:27], v[30:31] offset1:1
	ds_write2_b64 v103, v[6:7], v[12:13] offset1:1
	v_mov_b32_e32 v3, v4
	v_mov_b32_e32 v4, v5
	;; [unrolled: 1-line block ×7, first 2 shown]
	v_pk_add_f32 v[4:5], v[4:5], v[6:7] neg_lo:[0,1] neg_hi:[0,1]
	v_pk_add_f32 v[6:7], v[2:3], v[0:1]
	v_pk_add_f32 v[8:9], v[2:3], v[0:1] neg_lo:[0,1] neg_hi:[0,1]
	v_pk_add_f32 v[0:1], v[10:11], v[18:19] neg_lo:[0,1] neg_hi:[0,1]
	s_mov_b32 s0, 0xcccd
	ds_write_b64 v103, v[0:1] offset:32
	v_mul_u32_u24_sdwa v0, v50, s0 dst_sel:DWORD dst_unused:UNUSED_PAD src0_sel:WORD_0 src1_sel:DWORD
	v_lshrrev_b32_e32 v95, 19, v0
	v_mul_lo_u16_e32 v0, 10, v95
	v_sub_u16_e32 v98, v50, v0
	v_mul_u32_u24_e32 v0, 5, v98
	v_mov_b32_e32 v7, v9
	v_lshlrev_b32_e32 v92, 3, v0
	ds_write2_b64 v103, v[6:7], v[4:5] offset0:2 offset1:3
	s_waitcnt lgkmcnt(0)
	s_barrier
	global_load_dwordx4 v[108:111], v92, s[8:9]
	v_mul_u32_u24_sdwa v0, v51, s0 dst_sel:DWORD dst_unused:UNUSED_PAD src0_sel:WORD_0 src1_sel:DWORD
	v_lshrrev_b32_e32 v97, 19, v0
	v_mul_lo_u16_e32 v0, 10, v97
	v_sub_u16_e32 v99, v51, v0
	v_mul_u32_u24_e32 v0, 5, v99
	v_lshlrev_b32_e32 v115, 3, v0
	global_load_dwordx4 v[116:119], v115, s[8:9]
	s_movk_i32 s1, 0xcd
	v_mul_lo_u16_sdwa v0, v32, s1 dst_sel:DWORD dst_unused:UNUSED_PAD src0_sel:BYTE_0 src1_sel:DWORD
	v_lshrrev_b16_e32 v96, 11, v0
	v_mul_lo_u16_e32 v0, 10, v96
	v_sub_u16_e32 v104, v32, v0
	v_mov_b32_e32 v94, 5
	v_mul_u32_u24_sdwa v0, v104, v94 dst_sel:DWORD dst_unused:UNUSED_PAD src0_sel:BYTE_0 src1_sel:DWORD
	v_lshlrev_b32_e32 v24, 3, v0
	global_load_dwordx4 v[0:3], v24, s[8:9]
	global_load_dwordx4 v[4:7], v24, s[8:9] offset:16
	v_mul_lo_u16_sdwa v8, v48, s1 dst_sel:DWORD dst_unused:UNUSED_PAD src0_sel:BYTE_0 src1_sel:DWORD
	v_lshrrev_b16_e32 v113, 11, v8
	v_mul_lo_u16_e32 v8, 10, v113
	v_sub_u16_e32 v114, v48, v8
	v_mul_u32_u24_sdwa v8, v114, v94 dst_sel:DWORD dst_unused:UNUSED_PAD src0_sel:BYTE_0 src1_sel:DWORD
	v_lshlrev_b32_e32 v121, 3, v8
	global_load_dwordx4 v[8:11], v121, s[8:9] offset:16
	global_load_dwordx4 v[12:15], v92, s[8:9] offset:16
	;; [unrolled: 1-line block ×3, first 2 shown]
	v_mul_u32_u24_sdwa v20, v60, s0 dst_sel:DWORD dst_unused:UNUSED_PAD src0_sel:WORD_0 src1_sel:DWORD
	v_lshrrev_b32_e32 v100, 19, v20
	v_mul_lo_u16_e32 v20, 10, v100
	v_sub_u16_e32 v102, v60, v20
	v_mul_u32_u24_e32 v20, 5, v102
	v_lshlrev_b32_e32 v124, 3, v20
	global_load_dwordx4 v[20:23], v124, s[8:9] offset:16
	ds_read2_b32 v[30:31], v148 offset0:32 offset1:128
	ds_read2_b32 v[122:123], v147 offset0:128 offset1:224
	global_load_dwordx2 v[90:91], v24, s[8:9] offset:32
	s_mov_b32 s4, 0x8889
	global_load_dwordx2 v[92:93], v92, s[8:9] offset:32
	v_cmp_gt_u32_e64 s[0:1], 60, v32
	s_movk_i32 s5, 0x1000
	v_lshl_add_u64 v[64:65], v[64:65], 3, s[8:9]
	s_waitcnt vmcnt(9) lgkmcnt(1)
	v_mul_f32_e32 v25, v30, v109
	s_waitcnt lgkmcnt(0)
	v_mul_f32_e32 v24, v122, v111
	v_fma_f32 v105, v28, v108, -v25
	v_fma_f32 v107, v88, v110, -v24
	global_load_dwordx4 v[24:27], v124, s[8:9]
	v_mul_f32_e32 v106, v28, v109
	v_fmac_f32_e32 v106, v30, v108
	v_mul_f32_e32 v108, v88, v111
	v_fmac_f32_e32 v108, v122, v110
	s_waitcnt vmcnt(9)
	v_mul_f32_e32 v28, v31, v117
	v_mul_f32_e32 v110, v29, v117
	v_fma_f32 v109, v29, v116, -v28
	v_fmac_f32_e32 v110, v31, v116
	global_load_dwordx4 v[28:31], v121, s[8:9]
	v_mul_f32_e32 v88, v123, v119
	v_mul_f32_e32 v112, v89, v119
	v_fma_f32 v111, v89, v118, -v88
	global_load_dwordx2 v[88:89], v121, s[8:9] offset:32
	v_fmac_f32_e32 v112, v123, v118
	ds_read_b32 v116, v126
	ds_read_b32 v118, v136
	;; [unrolled: 1-line block ×6, first 2 shown]
	s_waitcnt vmcnt(10)
	v_mul_f32_e32 v128, v154, v1
	s_waitcnt lgkmcnt(5)
	v_mul_f32_e32 v117, v116, v1
	v_fmac_f32_e32 v128, v116, v0
	s_waitcnt lgkmcnt(4)
	v_mul_f32_e32 v116, v118, v3
	v_fma_f32 v127, v154, v0, -v117
	v_fma_f32 v129, v153, v2, -v116
	v_mul_f32_e32 v130, v153, v3
	global_load_dwordx2 v[116:117], v115, s[8:9] offset:32
	v_fmac_f32_e32 v130, v118, v2
	global_load_dwordx2 v[118:119], v124, s[8:9] offset:32
	ds_read2_b32 v[0:1], v146 offset0:64 offset1:160
	ds_read2_b32 v[2:3], v137 offset0:128 offset1:224
	s_waitcnt vmcnt(11) lgkmcnt(1)
	v_mul_f32_e32 v115, v1, v5
	v_fma_f32 v115, v77, v4, -v115
	v_mul_f32_e32 v77, v77, v5
	v_fmac_f32_e32 v77, v1, v4
	s_waitcnt lgkmcnt(0)
	v_mul_f32_e32 v1, v2, v7
	ds_read2_b32 v[4:5], v142 offset1:96
	v_fma_f32 v124, v86, v6, -v1
	v_mul_f32_e32 v7, v86, v7
	s_waitcnt vmcnt(10)
	v_mul_f32_e32 v1, v3, v11
	v_mul_f32_e32 v11, v87, v11
	v_fmac_f32_e32 v7, v2, v6
	v_fmac_f32_e32 v11, v3, v10
	ds_read2_b32 v[2:3], v57 offset0:64 offset1:160
	v_fma_f32 v6, v87, v10, -v1
	s_waitcnt lgkmcnt(1)
	v_mul_f32_e32 v1, v4, v9
	v_fma_f32 v10, v84, v8, -v1
	v_mul_f32_e32 v9, v84, v9
	s_waitcnt vmcnt(9)
	v_mul_f32_e32 v1, v5, v13
	v_mul_f32_e32 v13, v85, v13
	v_fmac_f32_e32 v9, v4, v8
	v_fma_f32 v8, v85, v12, -v1
	v_fmac_f32_e32 v13, v5, v12
	s_waitcnt lgkmcnt(0)
	v_mul_f32_e32 v1, v2, v15
	ds_read2_b32 v[4:5], v55 offset0:64 offset1:160
	v_fma_f32 v12, v82, v14, -v1
	v_mul_f32_e32 v15, v82, v15
	s_waitcnt vmcnt(8)
	v_mul_f32_e32 v1, v3, v19
	v_mul_f32_e32 v19, v83, v19
	v_fmac_f32_e32 v15, v2, v14
	v_fmac_f32_e32 v19, v3, v18
	ds_read2_b32 v[2:3], v39 offset1:96
	v_fma_f32 v14, v83, v18, -v1
	s_waitcnt lgkmcnt(1)
	v_mul_f32_e32 v1, v4, v17
	v_fma_f32 v18, v80, v16, -v1
	v_mul_f32_e32 v17, v80, v17
	s_waitcnt vmcnt(7)
	v_mul_f32_e32 v1, v5, v21
	v_fmac_f32_e32 v17, v4, v16
	v_fma_f32 v16, v81, v20, -v1
	v_mul_f32_e32 v21, v81, v21
	s_waitcnt lgkmcnt(0)
	v_mul_f32_e32 v1, v2, v23
	v_fmac_f32_e32 v21, v5, v20
	v_fma_f32 v20, v78, v22, -v1
	v_mul_f32_e32 v23, v78, v23
	s_waitcnt vmcnt(6)
	v_mul_f32_e32 v78, v79, v91
	v_fmac_f32_e32 v23, v2, v22
	v_mul_f32_e32 v1, v3, v91
	v_fmac_f32_e32 v78, v3, v90
	ds_read2st64_b32 v[2:3], v53 offset0:13 offset1:16
	v_fma_f32 v22, v79, v90, -v1
	s_waitcnt vmcnt(4)
	v_mul_f32_e32 v1, v0, v27
	v_mul_f32_e32 v27, v76, v27
	v_fmac_f32_e32 v27, v0, v26
	s_waitcnt lgkmcnt(0)
	v_mul_f32_e32 v0, v2, v25
	v_fma_f32 v131, v76, v26, -v1
	v_fma_f32 v26, v74, v24, -v0
	ds_read2st64_b32 v[0:1], v120 offset1:9
	v_mul_f32_e32 v25, v74, v25
	v_fmac_f32_e32 v25, v2, v24
	s_waitcnt vmcnt(3)
	v_mul_f32_e32 v2, v3, v31
	v_mul_f32_e32 v31, v75, v31
	v_fma_f32 v24, v75, v30, -v2
	v_fmac_f32_e32 v31, v3, v30
	ds_read2_b32 v[2:3], v47 offset0:64 offset1:160
	s_waitcnt lgkmcnt(1)
	v_mul_f32_e32 v4, v1, v29
	v_fma_f32 v30, v69, v28, -v4
	ds_read2_b32 v[4:5], v41 offset0:128 offset1:224
	v_mul_f32_e32 v69, v69, v29
	s_waitcnt vmcnt(2)
	v_mul_f32_e32 v132, v72, v89
	v_fmac_f32_e32 v69, v1, v28
	s_waitcnt lgkmcnt(1)
	v_mul_f32_e32 v1, v2, v89
	v_fmac_f32_e32 v132, v2, v88
	v_mul_f32_e32 v2, v3, v93
	v_mul_f32_e32 v93, v73, v93
	v_fma_f32 v2, v73, v92, -v2
	v_fmac_f32_e32 v93, v3, v92
	s_waitcnt vmcnt(1) lgkmcnt(0)
	v_mul_f32_e32 v3, v4, v117
	v_mul_f32_e32 v92, v70, v117
	v_fma_f32 v3, v70, v116, -v3
	v_fmac_f32_e32 v92, v4, v116
	s_waitcnt vmcnt(0)
	v_mul_f32_e32 v116, v71, v119
	v_add_f32_e32 v28, v129, v124
	v_mul_f32_e32 v4, v5, v119
	v_fmac_f32_e32 v116, v5, v118
	v_add_f32_e32 v5, v68, v129
	v_fmac_f32_e32 v68, -0.5, v28
	v_sub_f32_e32 v28, v130, v7
	v_add_f32_e32 v70, v115, v22
	v_fma_f32 v1, v72, v88, -v1
	v_fmamk_f32 v29, v28, 0x3f5db3d7, v68
	v_fmac_f32_e32 v68, 0xbf5db3d7, v28
	v_add_f32_e32 v28, v127, v115
	v_fmac_f32_e32 v127, -0.5, v70
	v_sub_f32_e32 v70, v77, v78
	v_add_f32_e32 v72, v77, v78
	v_fma_f32 v4, v71, v118, -v4
	v_fmamk_f32 v71, v70, 0x3f5db3d7, v127
	v_fmac_f32_e32 v127, 0xbf5db3d7, v70
	v_add_f32_e32 v70, v128, v77
	v_fmac_f32_e32 v128, -0.5, v72
	v_sub_f32_e32 v72, v115, v22
	v_fmamk_f32 v73, v72, 0xbf5db3d7, v128
	v_fmac_f32_e32 v128, 0x3f5db3d7, v72
	v_mul_f32_e32 v72, -0.5, v127
	v_fmac_f32_e32 v72, 0x3f5db3d7, v128
	v_add_f32_e32 v75, v130, v7
	v_add_f32_e32 v74, v68, v72
	v_sub_f32_e32 v68, v68, v72
	v_add_f32_e32 v72, v0, v130
	v_fmac_f32_e32 v0, -0.5, v75
	v_sub_f32_e32 v75, v129, v124
	v_fmamk_f32 v115, v75, 0xbf5db3d7, v0
	v_fmac_f32_e32 v0, 0x3f5db3d7, v75
	v_mul_f32_e32 v75, -0.5, v128
	v_fmac_f32_e32 v75, 0xbf5db3d7, v127
	v_add_f32_e32 v22, v28, v22
	v_mul_u32_u24_e32 v28, 0xf0, v96
	v_mov_b32_e32 v96, 2
	v_add_f32_e32 v117, v0, v75
	v_sub_f32_e32 v0, v0, v75
	v_lshlrev_b32_sdwa v75, v96, v104 dst_sel:DWORD dst_unused:UNUSED_PAD src0_sel:DWORD src1_sel:BYTE_0
	v_add_f32_e32 v5, v5, v124
	v_add3_u32 v118, 0, v28, v75
	v_mul_f32_e32 v28, 0x3f5db3d7, v73
	v_fmac_f32_e32 v28, 0.5, v71
	v_add_f32_e32 v75, v5, v22
	v_sub_f32_e32 v5, v5, v22
	s_barrier
	v_add_f32_e32 v76, v29, v28
	ds_write2_b32 v118, v74, v5 offset0:20 offset1:30
	v_sub_f32_e32 v5, v29, v28
	v_add_f32_e32 v22, v24, v6
	v_add_f32_e32 v28, v10, v1
	ds_write2_b32 v118, v5, v68 offset0:40 offset1:50
	v_add_f32_e32 v5, v152, v24
	v_fmac_f32_e32 v152, -0.5, v22
	v_add_f32_e32 v22, v30, v10
	v_fmac_f32_e32 v30, -0.5, v28
	v_add_f32_e32 v68, v69, v9
	v_add_f32_e32 v28, v9, v132
	v_sub_f32_e32 v9, v9, v132
	v_fmac_f32_e32 v69, -0.5, v28
	v_add_f32_e32 v22, v22, v1
	v_sub_f32_e32 v1, v10, v1
	v_mul_u32_u24_e32 v10, 0xf0, v113
	v_add_f32_e32 v5, v5, v6
	v_fmamk_f32 v113, v9, 0x3f5db3d7, v30
	v_fmac_f32_e32 v30, 0xbf5db3d7, v9
	ds_write2_b32 v118, v75, v76 offset1:10
	v_lshlrev_b32_sdwa v28, v96, v114 dst_sel:DWORD dst_unused:UNUSED_PAD src0_sel:DWORD src1_sel:BYTE_0
	v_fmamk_f32 v114, v1, 0xbf5db3d7, v69
	v_sub_f32_e32 v29, v31, v11
	v_add_f32_e32 v75, v5, v22
	v_fmac_f32_e32 v69, 0x3f5db3d7, v1
	v_sub_f32_e32 v1, v5, v22
	v_mul_f32_e32 v5, -0.5, v30
	v_add3_u32 v10, 0, v10, v28
	v_mul_f32_e32 v28, 0x3f5db3d7, v114
	v_fmamk_f32 v74, v29, 0x3f5db3d7, v152
	v_fmac_f32_e32 v152, 0xbf5db3d7, v29
	v_fmac_f32_e32 v5, 0x3f5db3d7, v69
	v_fmac_f32_e32 v28, 0.5, v113
	v_add_f32_e32 v9, v152, v5
	ds_write2_b32 v10, v9, v1 offset0:20 offset1:30
	v_sub_f32_e32 v1, v74, v28
	v_sub_f32_e32 v5, v152, v5
	ds_write2_b32 v10, v1, v5 offset0:40 offset1:50
	v_add_f32_e32 v5, v107, v12
	v_add_f32_e32 v1, v151, v107
	v_fmac_f32_e32 v151, -0.5, v5
	v_add_f32_e32 v5, v105, v8
	v_add_f32_e32 v9, v8, v2
	;; [unrolled: 1-line block ×3, first 2 shown]
	v_fmac_f32_e32 v105, -0.5, v9
	v_add_f32_e32 v9, v106, v13
	v_fmac_f32_e32 v106, -0.5, v22
	v_add_f32_e32 v5, v5, v2
	v_sub_f32_e32 v2, v8, v2
	v_mul_u32_u24_e32 v8, 0xf0, v95
	v_lshlrev_b32_e32 v22, 2, v98
	v_sub_f32_e32 v13, v13, v93
	v_add3_u32 v8, 0, v8, v22
	v_fmamk_f32 v22, v13, 0x3f5db3d7, v105
	v_fmac_f32_e32 v105, 0xbf5db3d7, v13
	v_fmamk_f32 v95, v2, 0xbf5db3d7, v106
	v_sub_f32_e32 v29, v108, v15
	v_fmac_f32_e32 v106, 0x3f5db3d7, v2
	v_mul_f32_e32 v2, -0.5, v105
	v_add_f32_e32 v76, v74, v28
	v_add_f32_e32 v1, v1, v12
	v_mul_f32_e32 v28, 0x3f5db3d7, v95
	v_fmamk_f32 v74, v29, 0x3f5db3d7, v151
	v_fmac_f32_e32 v151, 0xbf5db3d7, v29
	v_fmac_f32_e32 v2, 0x3f5db3d7, v106
	ds_write2_b32 v10, v75, v76 offset1:10
	v_fmac_f32_e32 v28, 0.5, v22
	v_add_f32_e32 v75, v1, v5
	v_sub_f32_e32 v1, v1, v5
	v_add_f32_e32 v5, v151, v2
	ds_write2_b32 v8, v5, v1 offset0:20 offset1:30
	v_sub_f32_e32 v1, v74, v28
	v_sub_f32_e32 v2, v151, v2
	ds_write2_b32 v8, v1, v2 offset0:40 offset1:50
	v_add_f32_e32 v2, v111, v14
	v_add_f32_e32 v1, v150, v111
	v_fmac_f32_e32 v150, -0.5, v2
	v_add_f32_e32 v2, v109, v18
	v_add_f32_e32 v5, v18, v3
	v_add_f32_e32 v13, v17, v92
	v_fmac_f32_e32 v109, -0.5, v5
	v_add_f32_e32 v5, v110, v17
	v_fmac_f32_e32 v110, -0.5, v13
	v_add_f32_e32 v2, v2, v3
	v_sub_f32_e32 v3, v18, v3
	v_mul_u32_u24_e32 v13, 0xf0, v97
	v_lshlrev_b32_e32 v18, 2, v99
	v_sub_f32_e32 v17, v17, v92
	v_add_f32_e32 v76, v74, v28
	v_add3_u32 v13, 0, v13, v18
	v_add_f32_e32 v1, v1, v14
	v_fmamk_f32 v18, v17, 0x3f5db3d7, v109
	v_fmac_f32_e32 v109, 0xbf5db3d7, v17
	ds_write2_b32 v8, v75, v76 offset1:10
	v_fmamk_f32 v119, v3, 0xbf5db3d7, v110
	v_sub_f32_e32 v29, v112, v19
	v_add_f32_e32 v75, v1, v2
	v_fmac_f32_e32 v110, 0x3f5db3d7, v3
	v_sub_f32_e32 v1, v1, v2
	v_mul_f32_e32 v2, -0.5, v109
	v_mul_f32_e32 v28, 0x3f5db3d7, v119
	v_fmamk_f32 v74, v29, 0x3f5db3d7, v150
	v_fmac_f32_e32 v150, 0xbf5db3d7, v29
	v_fmac_f32_e32 v2, 0x3f5db3d7, v110
	v_fmac_f32_e32 v28, 0.5, v18
	v_add_f32_e32 v3, v150, v2
	ds_write2_b32 v13, v3, v1 offset0:20 offset1:30
	v_sub_f32_e32 v1, v74, v28
	v_sub_f32_e32 v2, v150, v2
	ds_write2_b32 v13, v1, v2 offset0:40 offset1:50
	v_add_f32_e32 v2, v131, v20
	v_add_f32_e32 v1, v149, v131
	v_fmac_f32_e32 v149, -0.5, v2
	v_add_f32_e32 v2, v26, v16
	v_add_f32_e32 v3, v16, v4
	;; [unrolled: 1-line block ×3, first 2 shown]
	v_fmac_f32_e32 v26, -0.5, v3
	v_add_f32_e32 v3, v25, v21
	v_fmac_f32_e32 v25, -0.5, v17
	v_add_f32_e32 v2, v2, v4
	v_sub_f32_e32 v4, v16, v4
	v_mul_u32_u24_e32 v16, 0xf0, v100
	v_lshlrev_b32_e32 v17, 2, v102
	v_add3_u32 v16, 0, v16, v17
	v_sub_f32_e32 v17, v21, v116
	v_add_f32_e32 v76, v74, v28
	v_add_f32_e32 v1, v1, v20
	v_fmamk_f32 v21, v17, 0x3f5db3d7, v26
	v_fmac_f32_e32 v26, 0xbf5db3d7, v17
	ds_write2_b32 v13, v75, v76 offset1:10
	v_fmamk_f32 v124, v4, 0xbf5db3d7, v25
	v_sub_f32_e32 v29, v27, v23
	v_add_f32_e32 v75, v1, v2
	v_fmac_f32_e32 v25, 0x3f5db3d7, v4
	v_sub_f32_e32 v1, v1, v2
	v_mul_f32_e32 v2, -0.5, v26
	v_mul_f32_e32 v28, 0x3f5db3d7, v124
	v_fmamk_f32 v74, v29, 0x3f5db3d7, v149
	v_fmac_f32_e32 v149, 0xbf5db3d7, v29
	v_fmac_f32_e32 v2, 0x3f5db3d7, v25
	v_fmac_f32_e32 v28, 0.5, v21
	v_add_f32_e32 v4, v149, v2
	ds_write2_b32 v16, v4, v1 offset0:20 offset1:30
	v_sub_f32_e32 v1, v74, v28
	v_sub_f32_e32 v2, v149, v2
	ds_write2_b32 v16, v1, v2 offset0:40 offset1:50
	v_add_f32_e32 v1, v72, v7
	v_add_f32_e32 v2, v70, v78
	v_mul_f32_e32 v4, 0xbf5db3d7, v71
	v_add_f32_e32 v76, v74, v28
	v_fmac_f32_e32 v4, 0.5, v73
	v_add_f32_e32 v7, v1, v2
	v_sub_f32_e32 v1, v1, v2
	ds_write2_b32 v16, v75, v76 offset1:10
	s_waitcnt lgkmcnt(0)
	s_barrier
	ds_read_b32 v104, v126
	ds_read_b32 v102, v136
	;; [unrolled: 1-line block ×6, first 2 shown]
	ds_read2st64_b32 v[70:71], v120 offset1:9
	ds_read2_b32 v[78:79], v146 offset0:64 offset1:160
	ds_read2_b32 v[88:89], v137 offset0:128 offset1:224
	ds_read2_b32 v[80:81], v39 offset1:96
	ds_read2st64_b32 v[76:77], v53 offset0:13 offset1:16
	ds_read2_b32 v[86:87], v142 offset1:96
	ds_read2_b32 v[74:75], v47 offset0:64 offset1:160
	ds_read2_b32 v[28:29], v148 offset0:32 offset1:128
	;; [unrolled: 1-line block ×6, first 2 shown]
	s_waitcnt lgkmcnt(0)
	s_barrier
	ds_write2_b32 v118, v117, v1 offset0:20 offset1:30
	v_sub_f32_e32 v1, v115, v4
	ds_write2_b32 v118, v1, v0 offset0:40 offset1:50
	v_add_f32_e32 v1, v31, v11
	v_add_f32_e32 v0, v125, v31
	v_fmac_f32_e32 v125, -0.5, v1
	v_sub_f32_e32 v1, v24, v6
	v_fmamk_f32 v6, v1, 0xbf5db3d7, v125
	v_fmac_f32_e32 v125, 0x3f5db3d7, v1
	v_mul_f32_e32 v1, -0.5, v69
	v_add_f32_e32 v17, v115, v4
	v_add_f32_e32 v0, v0, v11
	;; [unrolled: 1-line block ×3, first 2 shown]
	v_mul_f32_e32 v4, 0xbf5db3d7, v113
	v_fmac_f32_e32 v1, 0xbf5db3d7, v30
	ds_write2_b32 v118, v7, v17 offset1:10
	v_fmac_f32_e32 v4, 0.5, v114
	v_add_f32_e32 v7, v0, v2
	v_sub_f32_e32 v0, v0, v2
	v_add_f32_e32 v2, v125, v1
	ds_write2_b32 v10, v2, v0 offset0:20 offset1:30
	v_sub_f32_e32 v0, v6, v4
	v_sub_f32_e32 v1, v125, v1
	ds_write2_b32 v10, v0, v1 offset0:40 offset1:50
	v_add_f32_e32 v1, v108, v15
	v_add_f32_e32 v0, v123, v108
	v_fmac_f32_e32 v123, -0.5, v1
	v_sub_f32_e32 v1, v107, v12
	v_add_f32_e32 v11, v6, v4
	v_fmamk_f32 v6, v1, 0xbf5db3d7, v123
	v_fmac_f32_e32 v123, 0x3f5db3d7, v1
	v_mul_f32_e32 v1, -0.5, v106
	v_add_f32_e32 v0, v0, v15
	v_add_f32_e32 v2, v9, v93
	v_mul_f32_e32 v4, 0xbf5db3d7, v22
	v_fmac_f32_e32 v1, 0xbf5db3d7, v105
	ds_write2_b32 v10, v7, v11 offset1:10
	v_fmac_f32_e32 v4, 0.5, v95
	v_add_f32_e32 v7, v0, v2
	v_sub_f32_e32 v0, v0, v2
	v_add_f32_e32 v2, v123, v1
	ds_write2_b32 v8, v2, v0 offset0:20 offset1:30
	v_sub_f32_e32 v0, v6, v4
	v_sub_f32_e32 v1, v123, v1
	ds_write2_b32 v8, v0, v1 offset0:40 offset1:50
	v_add_f32_e32 v1, v112, v19
	v_add_f32_e32 v0, v121, v112
	v_fmac_f32_e32 v121, -0.5, v1
	v_sub_f32_e32 v1, v111, v14
	v_add_f32_e32 v2, v5, v92
	v_fmamk_f32 v5, v1, 0xbf5db3d7, v121
	v_fmac_f32_e32 v121, 0x3f5db3d7, v1
	v_mul_f32_e32 v1, -0.5, v110
	v_add_f32_e32 v9, v6, v4
	v_add_f32_e32 v0, v0, v19
	v_mul_f32_e32 v4, 0xbf5db3d7, v18
	v_fmac_f32_e32 v1, 0xbf5db3d7, v109
	v_fmac_f32_e32 v4, 0.5, v119
	v_add_f32_e32 v6, v0, v2
	v_sub_f32_e32 v0, v0, v2
	v_add_f32_e32 v2, v121, v1
	ds_write2_b32 v8, v7, v9 offset1:10
	ds_write2_b32 v13, v2, v0 offset0:20 offset1:30
	v_sub_f32_e32 v0, v5, v4
	v_sub_f32_e32 v1, v121, v1
	ds_write2_b32 v13, v0, v1 offset0:40 offset1:50
	v_add_f32_e32 v1, v27, v23
	v_add_f32_e32 v0, v122, v27
	v_fmac_f32_e32 v122, -0.5, v1
	v_sub_f32_e32 v1, v131, v20
	v_fmamk_f32 v2, v1, 0xbf5db3d7, v122
	v_fmac_f32_e32 v122, 0x3f5db3d7, v1
	v_add_f32_e32 v1, v3, v116
	v_mul_f32_e32 v3, 0xbf5db3d7, v21
	v_add_f32_e32 v7, v5, v4
	v_add_f32_e32 v0, v0, v23
	v_fmac_f32_e32 v3, 0.5, v124
	v_mul_f32_e32 v4, -0.5, v25
	v_fmac_f32_e32 v4, 0xbf5db3d7, v26
	v_add_f32_e32 v5, v0, v1
	v_sub_f32_e32 v0, v0, v1
	v_add_f32_e32 v1, v2, v3
	ds_write2_b32 v13, v6, v7 offset1:10
	v_sub_f32_e32 v2, v2, v3
	v_add_f32_e32 v3, v122, v4
	v_sub_f32_e32 v4, v122, v4
	ds_write2_b32 v16, v5, v1 offset1:10
	ds_write2_b32 v16, v3, v0 offset0:20 offset1:30
	ds_write2_b32 v16, v2, v4 offset0:40 offset1:50
	v_mul_u32_u24_sdwa v0, v50, s4 dst_sel:DWORD dst_unused:UNUSED_PAD src0_sel:WORD_0 src1_sel:DWORD
	v_lshrrev_b32_e32 v108, 21, v0
	v_mul_lo_u16_e32 v0, 60, v108
	v_sub_u16_e32 v107, v50, v0
	v_mul_u32_u24_e32 v0, 5, v107
	v_lshlrev_b32_e32 v95, 3, v0
	s_waitcnt lgkmcnt(0)
	s_barrier
	global_load_dwordx4 v[110:113], v95, s[8:9] offset:400
	v_mul_u32_u24_sdwa v0, v51, s4 dst_sel:DWORD dst_unused:UNUSED_PAD src0_sel:WORD_0 src1_sel:DWORD
	v_lshrrev_b32_e32 v115, 21, v0
	v_mul_lo_u16_e32 v0, 60, v115
	v_sub_u16_e32 v106, v51, v0
	v_mul_u32_u24_e32 v0, 5, v106
	v_lshlrev_b32_e32 v122, 3, v0
	global_load_dwordx4 v[128:131], v122, s[8:9] offset:400
	v_subrev_u32_e32 v0, 60, v32
	v_cndmask_b32_e64 v118, v0, v32, s[0:1]
	v_mul_i32_i24_e32 v68, 5, v118
	v_mov_b32_e32 v69, 0
	v_lshl_add_u64 v[24:25], v[68:69], 3, s[8:9]
	global_load_dwordx4 v[0:3], v[24:25], off offset:400
	global_load_dwordx4 v[4:7], v[24:25], off offset:416
	s_movk_i32 s0, 0x89
	v_mul_lo_u16_sdwa v8, v48, s0 dst_sel:DWORD dst_unused:UNUSED_PAD src0_sel:BYTE_0 src1_sel:DWORD
	v_lshrrev_b16_e32 v119, 13, v8
	v_mul_lo_u16_e32 v8, 60, v119
	v_sub_u16_e32 v121, v48, v8
	v_mul_u32_u24_sdwa v8, v121, v94 dst_sel:DWORD dst_unused:UNUSED_PAD src0_sel:BYTE_0 src1_sel:DWORD
	v_lshlrev_b32_e32 v123, 3, v8
	global_load_dwordx4 v[8:11], v123, s[8:9] offset:416
	global_load_dwordx4 v[12:15], v95, s[8:9] offset:416
	global_load_dwordx4 v[16:19], v122, s[8:9] offset:416
	v_mul_u32_u24_sdwa v20, v60, s4 dst_sel:DWORD dst_unused:UNUSED_PAD src0_sel:WORD_0 src1_sel:DWORD
	v_lshrrev_b32_e32 v116, 21, v20
	v_mul_lo_u16_e32 v20, 60, v116
	v_sub_u16_e32 v117, v60, v20
	v_mul_u32_u24_e32 v20, 5, v117
	ds_read2_b32 v[30:31], v148 offset0:32 offset1:128
	v_lshlrev_b32_e32 v127, 3, v20
	ds_read2_b32 v[124:125], v147 offset0:128 offset1:224
	global_load_dwordx4 v[20:23], v127, s[8:9] offset:416
	global_load_dwordx2 v[92:93], v[24:25], off offset:432
	v_cmp_lt_u32_e64 s[0:1], 59, v32
	global_load_dwordx2 v[94:95], v95, s[8:9] offset:432
	v_lshl_add_u64 v[60:61], v[60:61], 3, s[8:9]
	s_movk_i32 s4, 0x2000
	s_waitcnt vmcnt(9) lgkmcnt(1)
	v_mul_f32_e32 v26, v30, v111
	s_waitcnt lgkmcnt(0)
	v_mul_f32_e32 v24, v124, v113
	v_fma_f32 v68, v28, v110, -v26
	v_fma_f32 v109, v90, v112, -v24
	global_load_dwordx4 v[24:27], v127, s[8:9] offset:400
	v_mul_f32_e32 v105, v28, v111
	v_fmac_f32_e32 v105, v30, v110
	v_mul_f32_e32 v110, v90, v113
	v_fmac_f32_e32 v110, v124, v112
	s_waitcnt vmcnt(9)
	v_mul_f32_e32 v28, v31, v129
	v_mul_f32_e32 v112, v29, v129
	v_fma_f32 v111, v29, v128, -v28
	v_fmac_f32_e32 v112, v31, v128
	global_load_dwordx4 v[28:31], v123, s[8:9] offset:400
	v_mul_f32_e32 v90, v125, v131
	v_mul_f32_e32 v114, v91, v131
	v_fma_f32 v113, v91, v130, -v90
	global_load_dwordx2 v[90:91], v123, s[8:9] offset:432
	v_fmac_f32_e32 v114, v125, v130
	ds_read_b32 v123, v126
	ds_read_b32 v124, v136
	;; [unrolled: 1-line block ×6, first 2 shown]
	s_waitcnt vmcnt(10) lgkmcnt(5)
	v_mul_f32_e32 v125, v123, v1
	v_fma_f32 v132, v104, v0, -v125
	v_mul_f32_e32 v104, v104, v1
	v_fmac_f32_e32 v104, v123, v0
	s_waitcnt lgkmcnt(4)
	v_mul_f32_e32 v123, v124, v3
	v_fma_f32 v133, v102, v2, -v123
	v_mul_f32_e32 v102, v102, v3
	global_load_dwordx2 v[122:123], v122, s[8:9] offset:432
	v_fmac_f32_e32 v102, v124, v2
	global_load_dwordx2 v[124:125], v127, s[8:9] offset:432
	ds_read2_b32 v[0:1], v146 offset0:64 offset1:160
	ds_read2_b32 v[2:3], v137 offset0:128 offset1:224
	s_waitcnt vmcnt(10)
	v_mul_f32_e32 v135, v89, v11
	s_waitcnt lgkmcnt(1)
	v_mul_f32_e32 v134, v1, v5
	v_fma_f32 v127, v79, v4, -v134
	v_mul_f32_e32 v79, v79, v5
	v_fmac_f32_e32 v79, v1, v4
	ds_read2_b32 v[4:5], v142 offset1:96
	s_waitcnt lgkmcnt(1)
	v_mul_f32_e32 v1, v2, v7
	v_mul_f32_e32 v7, v88, v7
	v_fma_f32 v134, v88, v6, -v1
	v_fmac_f32_e32 v7, v2, v6
	v_mul_f32_e32 v1, v3, v11
	v_fmac_f32_e32 v135, v3, v10
	ds_read2_b32 v[2:3], v57 offset0:64 offset1:160
	v_fma_f32 v6, v89, v10, -v1
	s_waitcnt lgkmcnt(1)
	v_mul_f32_e32 v1, v4, v9
	v_fma_f32 v10, v86, v8, -v1
	v_mul_f32_e32 v9, v86, v9
	s_waitcnt vmcnt(9)
	v_mul_f32_e32 v1, v5, v13
	v_fmac_f32_e32 v9, v4, v8
	v_fma_f32 v8, v87, v12, -v1
	v_mul_f32_e32 v11, v87, v13
	s_waitcnt lgkmcnt(0)
	v_mul_f32_e32 v1, v2, v15
	v_fmac_f32_e32 v11, v5, v12
	v_fma_f32 v86, v84, v14, -v1
	ds_read2_b32 v[4:5], v55 offset0:64 offset1:160
	s_waitcnt vmcnt(8)
	v_mul_f32_e32 v1, v3, v19
	v_mul_f32_e32 v84, v84, v15
	v_fma_f32 v138, v85, v18, -v1
	v_mul_f32_e32 v85, v85, v19
	v_fmac_f32_e32 v84, v2, v14
	v_fmac_f32_e32 v85, v3, v18
	ds_read2_b32 v[2:3], v39 offset1:96
	s_waitcnt lgkmcnt(1)
	v_mul_f32_e32 v1, v4, v17
	v_fma_f32 v12, v82, v16, -v1
	s_waitcnt vmcnt(7)
	v_mul_f32_e32 v1, v5, v21
	v_mul_f32_e32 v13, v82, v17
	v_fma_f32 v14, v83, v20, -v1
	s_waitcnt lgkmcnt(0)
	v_mul_f32_e32 v1, v2, v23
	v_mul_f32_e32 v23, v80, v23
	s_waitcnt vmcnt(6)
	v_mul_f32_e32 v17, v81, v93
	v_fma_f32 v82, v80, v22, -v1
	v_fmac_f32_e32 v23, v2, v22
	v_mul_f32_e32 v1, v3, v93
	v_fmac_f32_e32 v17, v3, v92
	ds_read2st64_b32 v[2:3], v53 offset0:13 offset1:16
	v_fmac_f32_e32 v13, v4, v16
	v_fma_f32 v16, v81, v92, -v1
	v_mul_f32_e32 v15, v83, v21
	v_fmac_f32_e32 v15, v5, v20
	v_add_f32_e32 v18, v133, v134
	s_waitcnt vmcnt(4)
	v_mul_f32_e32 v1, v0, v27
	v_fma_f32 v22, v78, v26, -v1
	v_mul_f32_e32 v78, v78, v27
	v_fmac_f32_e32 v78, v0, v26
	s_waitcnt lgkmcnt(0)
	v_mul_f32_e32 v0, v2, v25
	v_fma_f32 v80, v76, v24, -v0
	ds_read2st64_b32 v[0:1], v120 offset1:9
	v_mul_f32_e32 v92, v76, v25
	v_fmac_f32_e32 v92, v2, v24
	s_waitcnt vmcnt(3)
	v_mul_f32_e32 v2, v3, v31
	v_fma_f32 v93, v77, v30, -v2
	v_mul_f32_e32 v77, v77, v31
	v_fmac_f32_e32 v77, v3, v30
	ds_read2_b32 v[2:3], v47 offset0:64 offset1:160
	s_waitcnt lgkmcnt(1)
	v_mul_f32_e32 v4, v1, v29
	v_fma_f32 v139, v71, v28, -v4
	ds_read2_b32 v[4:5], v41 offset0:128 offset1:224
	v_mul_f32_e32 v140, v71, v29
	s_waitcnt vmcnt(2)
	v_mul_f32_e32 v141, v74, v91
	v_fmac_f32_e32 v140, v1, v28
	s_waitcnt lgkmcnt(1)
	v_mul_f32_e32 v1, v2, v91
	v_fmac_f32_e32 v141, v2, v90
	v_mul_f32_e32 v2, v3, v95
	v_mul_f32_e32 v95, v75, v95
	v_fma_f32 v2, v75, v94, -v2
	v_fmac_f32_e32 v95, v3, v94
	s_waitcnt vmcnt(1) lgkmcnt(0)
	v_mul_f32_e32 v3, v4, v123
	v_mul_f32_e32 v94, v72, v123
	v_fma_f32 v3, v72, v122, -v3
	v_fmac_f32_e32 v94, v4, v122
	s_waitcnt vmcnt(0)
	v_mul_f32_e32 v122, v73, v125
	v_mul_f32_e32 v4, v5, v125
	v_fmac_f32_e32 v122, v5, v124
	v_add_f32_e32 v5, v70, v133
	v_fmac_f32_e32 v70, -0.5, v18
	v_sub_f32_e32 v18, v102, v7
	v_add_f32_e32 v20, v127, v16
	v_fmamk_f32 v19, v18, 0x3f5db3d7, v70
	v_fmac_f32_e32 v70, 0xbf5db3d7, v18
	v_add_f32_e32 v18, v132, v127
	v_fmac_f32_e32 v132, -0.5, v20
	v_sub_f32_e32 v20, v79, v17
	v_add_f32_e32 v24, v79, v17
	v_fmamk_f32 v21, v20, 0x3f5db3d7, v132
	v_fmac_f32_e32 v132, 0xbf5db3d7, v20
	v_add_f32_e32 v20, v104, v79
	v_fmac_f32_e32 v104, -0.5, v24
	v_sub_f32_e32 v24, v127, v16
	v_add_f32_e32 v16, v18, v16
	v_mov_b32_e32 v18, 0x5a0
	v_fmamk_f32 v25, v24, 0xbf5db3d7, v104
	v_fmac_f32_e32 v104, 0x3f5db3d7, v24
	v_mul_f32_e32 v24, -0.5, v132
	v_cndmask_b32_e64 v18, 0, v18, s[0:1]
	v_lshlrev_b32_e32 v27, 2, v118
	v_fmac_f32_e32 v24, 0x3f5db3d7, v104
	v_add3_u32 v118, 0, v18, v27
	v_add_f32_e32 v5, v5, v134
	v_mul_f32_e32 v18, 0x3f5db3d7, v25
	v_fma_f32 v1, v74, v90, -v1
	v_add_f32_e32 v26, v70, v24
	v_fmac_f32_e32 v18, 0.5, v21
	v_add_f32_e32 v27, v5, v16
	v_sub_f32_e32 v5, v5, v16
	v_sub_f32_e32 v24, v70, v24
	s_barrier
	v_add_f32_e32 v28, v19, v18
	ds_write2_b32 v118, v26, v5 offset0:120 offset1:180
	v_sub_f32_e32 v5, v19, v18
	v_add_u32_e32 v123, 0x200, v118
	v_add_f32_e32 v16, v93, v6
	v_add_f32_e32 v18, v10, v1
	v_fma_f32 v4, v73, v124, -v4
	ds_write2_b32 v123, v5, v24 offset0:112 offset1:172
	v_add_f32_e32 v5, v100, v93
	v_fmac_f32_e32 v100, -0.5, v16
	v_add_f32_e32 v16, v139, v10
	v_fmac_f32_e32 v139, -0.5, v18
	v_add_f32_e32 v124, v140, v9
	v_add_f32_e32 v18, v9, v141
	v_sub_f32_e32 v9, v9, v141
	v_fmac_f32_e32 v140, -0.5, v18
	v_add_f32_e32 v16, v16, v1
	v_sub_f32_e32 v1, v10, v1
	v_lshlrev_b32_sdwa v10, v96, v121 dst_sel:DWORD dst_unused:UNUSED_PAD src0_sel:DWORD src1_sel:BYTE_0
	v_mul_u32_u24_e32 v18, 0x5a0, v119
	v_add_f32_e32 v5, v5, v6
	v_fmamk_f32 v119, v9, 0x3f5db3d7, v139
	v_fmac_f32_e32 v139, 0xbf5db3d7, v9
	v_add3_u32 v96, 0, v18, v10
	v_fmamk_f32 v121, v1, 0xbf5db3d7, v140
	v_sub_f32_e32 v18, v77, v135
	v_add_f32_e32 v24, v5, v16
	v_fmac_f32_e32 v140, 0x3f5db3d7, v1
	v_sub_f32_e32 v1, v5, v16
	v_mul_f32_e32 v5, -0.5, v139
	v_mul_f32_e32 v10, 0x3f5db3d7, v121
	v_fmamk_f32 v19, v18, 0x3f5db3d7, v100
	v_fmac_f32_e32 v100, 0xbf5db3d7, v18
	v_fmac_f32_e32 v5, 0x3f5db3d7, v140
	v_fmac_f32_e32 v10, 0.5, v119
	v_add_f32_e32 v9, v100, v5
	ds_write2_b32 v118, v27, v28 offset1:60
	ds_write2_b32 v96, v9, v1 offset0:120 offset1:180
	v_sub_f32_e32 v1, v19, v10
	v_sub_f32_e32 v5, v100, v5
	v_add_u32_e32 v100, 0x200, v96
	ds_write2_b32 v100, v1, v5 offset0:112 offset1:172
	v_add_f32_e32 v5, v109, v86
	v_add_f32_e32 v1, v99, v109
	v_fmac_f32_e32 v99, -0.5, v5
	v_add_f32_e32 v5, v68, v8
	s_mov_b32 s0, 0x5040100
	v_add_f32_e32 v9, v8, v2
	v_add_f32_e32 v5, v5, v2
	v_sub_f32_e32 v2, v8, v2
	v_perm_b32 v8, v115, v108, s0
	s_movk_i32 s0, 0x5a0
	v_fmac_f32_e32 v68, -0.5, v9
	v_add_f32_e32 v9, v11, v95
	v_pk_mul_lo_u16 v8, v8, s0 op_sel_hi:[1,0]
	v_add_f32_e32 v26, v19, v10
	v_add_f32_e32 v125, v105, v11
	v_fmac_f32_e32 v105, -0.5, v9
	v_lshlrev_b32_e32 v9, 2, v107
	v_and_b32_e32 v10, 0xffe0, v8
	v_add3_u32 v107, 0, v10, v9
	v_sub_f32_e32 v9, v11, v95
	v_fmamk_f32 v108, v9, 0x3f5db3d7, v68
	v_fmac_f32_e32 v68, 0xbf5db3d7, v9
	v_fmamk_f32 v115, v2, 0xbf5db3d7, v105
	v_sub_f32_e32 v11, v110, v84
	v_fmac_f32_e32 v105, 0x3f5db3d7, v2
	v_mul_f32_e32 v2, -0.5, v68
	v_add_f32_e32 v1, v1, v86
	v_mul_f32_e32 v10, 0x3f5db3d7, v115
	v_fmamk_f32 v16, v11, 0x3f5db3d7, v99
	v_fmac_f32_e32 v99, 0xbf5db3d7, v11
	v_fmac_f32_e32 v2, 0x3f5db3d7, v105
	v_fmac_f32_e32 v10, 0.5, v108
	v_add_f32_e32 v18, v1, v5
	v_sub_f32_e32 v1, v1, v5
	v_add_f32_e32 v5, v99, v2
	ds_write2_b32 v96, v24, v26 offset1:60
	ds_write2_b32 v107, v5, v1 offset0:120 offset1:180
	v_sub_f32_e32 v1, v16, v10
	v_sub_f32_e32 v2, v99, v2
	v_add_u32_e32 v5, 0x200, v107
	ds_write2_b32 v5, v1, v2 offset0:112 offset1:172
	v_add_f32_e32 v2, v113, v138
	v_add_f32_e32 v9, v12, v3
	;; [unrolled: 1-line block ×3, first 2 shown]
	v_fmac_f32_e32 v98, -0.5, v2
	v_add_f32_e32 v2, v111, v12
	v_fmac_f32_e32 v111, -0.5, v9
	v_add_f32_e32 v9, v13, v94
	v_add_f32_e32 v99, v112, v13
	v_fmac_f32_e32 v112, -0.5, v9
	v_lshrrev_b32_e32 v8, 16, v8
	v_lshlrev_b32_e32 v9, 2, v106
	v_add3_u32 v106, 0, v8, v9
	v_sub_f32_e32 v8, v13, v94
	v_add_f32_e32 v2, v2, v3
	v_sub_f32_e32 v3, v12, v3
	v_add_f32_e32 v1, v1, v138
	v_fmamk_f32 v127, v8, 0x3f5db3d7, v111
	v_fmac_f32_e32 v111, 0xbf5db3d7, v8
	v_add_f32_e32 v19, v16, v10
	v_fmamk_f32 v145, v3, 0xbf5db3d7, v112
	v_sub_f32_e32 v10, v114, v85
	v_add_f32_e32 v12, v1, v2
	v_fmac_f32_e32 v112, 0x3f5db3d7, v3
	v_sub_f32_e32 v1, v1, v2
	v_mul_f32_e32 v2, -0.5, v111
	v_mul_f32_e32 v9, 0x3f5db3d7, v145
	v_fmamk_f32 v11, v10, 0x3f5db3d7, v98
	v_fmac_f32_e32 v98, 0xbf5db3d7, v10
	v_fmac_f32_e32 v2, 0x3f5db3d7, v112
	v_fmac_f32_e32 v9, 0.5, v127
	v_add_f32_e32 v3, v98, v2
	ds_write2_b32 v107, v18, v19 offset1:60
	ds_write2_b32 v106, v3, v1 offset0:120 offset1:180
	v_sub_f32_e32 v1, v11, v9
	v_sub_f32_e32 v2, v98, v2
	v_add_u32_e32 v3, 0x200, v106
	ds_write2_b32 v3, v1, v2 offset0:112 offset1:172
	v_add_f32_e32 v2, v22, v82
	v_add_f32_e32 v8, v14, v4
	;; [unrolled: 1-line block ×3, first 2 shown]
	v_fmac_f32_e32 v97, -0.5, v2
	v_add_f32_e32 v2, v80, v14
	v_fmac_f32_e32 v80, -0.5, v8
	v_add_f32_e32 v8, v15, v122
	v_add_f32_e32 v13, v11, v9
	;; [unrolled: 1-line block ×3, first 2 shown]
	v_fmac_f32_e32 v92, -0.5, v8
	v_mul_u32_u24_e32 v8, 0x5a0, v116
	v_lshlrev_b32_e32 v9, 2, v117
	v_add3_u32 v116, 0, v8, v9
	v_sub_f32_e32 v8, v15, v122
	v_add_f32_e32 v2, v2, v4
	v_sub_f32_e32 v4, v14, v4
	v_add_f32_e32 v1, v1, v82
	v_fmamk_f32 v117, v8, 0x3f5db3d7, v80
	v_fmac_f32_e32 v80, 0xbf5db3d7, v8
	ds_write2_b32 v106, v12, v13 offset1:60
	v_fmamk_f32 v146, v4, 0xbf5db3d7, v92
	v_sub_f32_e32 v10, v78, v23
	v_add_f32_e32 v12, v1, v2
	v_fmac_f32_e32 v92, 0x3f5db3d7, v4
	v_sub_f32_e32 v1, v1, v2
	v_mul_f32_e32 v2, -0.5, v80
	v_mul_f32_e32 v9, 0x3f5db3d7, v146
	v_fmamk_f32 v11, v10, 0x3f5db3d7, v97
	v_fmac_f32_e32 v97, 0xbf5db3d7, v10
	v_fmac_f32_e32 v2, 0x3f5db3d7, v92
	v_fmac_f32_e32 v9, 0.5, v117
	v_add_f32_e32 v4, v97, v2
	ds_write2_b32 v116, v4, v1 offset0:120 offset1:180
	v_sub_f32_e32 v1, v11, v9
	v_sub_f32_e32 v2, v97, v2
	v_add_u32_e32 v4, 0x200, v116
	ds_write2_b32 v4, v1, v2 offset0:112 offset1:172
	v_add_f32_e32 v2, v102, v7
	v_add_f32_e32 v1, v0, v102
	v_fmac_f32_e32 v0, -0.5, v2
	v_sub_f32_e32 v2, v133, v134
	v_fmamk_f32 v102, v2, 0xbf5db3d7, v0
	v_fmac_f32_e32 v0, 0x3f5db3d7, v2
	v_mul_f32_e32 v2, -0.5, v104
	v_add_f32_e32 v1, v1, v7
	v_add_f32_e32 v7, v20, v17
	v_mul_f32_e32 v97, 0xbf5db3d7, v21
	v_fmac_f32_e32 v2, 0xbf5db3d7, v132
	v_add_f32_e32 v13, v11, v9
	v_fmac_f32_e32 v97, 0.5, v25
	v_lshl_add_u32 v71, v58, 2, 0
	v_lshl_add_u32 v53, v52, 2, 0
	v_add_f32_e32 v133, v1, v7
	v_sub_f32_e32 v1, v1, v7
	v_add_f32_e32 v7, v0, v2
	ds_write2_b32 v116, v12, v13 offset1:60
	s_waitcnt lgkmcnt(0)
	s_barrier
	ds_read_b32 v74, v120
	v_add_u32_e32 v87, 0x1600, v120
	v_add_u32_e32 v75, 0x1e00, v120
	v_lshl_add_u32 v79, v42, 2, 0
	ds_read_b32 v29, v71
	ds_read_b32 v28, v79
	v_add_u32_e32 v83, 0x2200, v120
	v_lshl_add_u32 v81, v38, 2, 0
	v_lshl_add_u32 v88, v54, 2, 0
	;; [unrolled: 1-line block ×4, first 2 shown]
	ds_read_b32 v47, v53
	ds_read_b32 v31, v81
	;; [unrolled: 1-line block ×5, first 2 shown]
	v_lshl_add_u32 v91, v56, 2, 0
	ds_read_b32 v72, v43
	ds_read_b32 v73, v45
	;; [unrolled: 1-line block ×7, first 2 shown]
	ds_read_b32 v76, v120 offset:11136
	ds_read2_b32 v[20:21], v87 offset0:32 offset1:128
	ds_read2_b32 v[18:19], v142 offset0:96 offset1:192
	;; [unrolled: 1-line block ×7, first 2 shown]
	s_waitcnt lgkmcnt(0)
	s_barrier
	ds_write2_b32 v118, v7, v1 offset0:120 offset1:180
	v_sub_f32_e32 v0, v0, v2
	v_sub_f32_e32 v1, v102, v97
	ds_write2_b32 v123, v1, v0 offset0:112 offset1:172
	v_add_f32_e32 v1, v77, v135
	v_add_f32_e32 v0, v131, v77
	v_fmac_f32_e32 v131, -0.5, v1
	v_sub_f32_e32 v1, v93, v6
	v_fmamk_f32 v7, v1, 0xbf5db3d7, v131
	v_fmac_f32_e32 v131, 0x3f5db3d7, v1
	v_mul_f32_e32 v1, -0.5, v140
	v_add_f32_e32 v0, v0, v135
	v_add_f32_e32 v2, v124, v141
	v_mul_f32_e32 v6, 0xbf5db3d7, v119
	v_fmac_f32_e32 v1, 0xbf5db3d7, v139
	v_add_f32_e32 v134, v102, v97
	v_fmac_f32_e32 v6, 0.5, v121
	v_add_f32_e32 v77, v0, v2
	v_sub_f32_e32 v0, v0, v2
	v_add_f32_e32 v2, v131, v1
	ds_write2_b32 v118, v133, v134 offset1:60
	ds_write2_b32 v96, v2, v0 offset0:120 offset1:180
	v_sub_f32_e32 v0, v7, v6
	v_sub_f32_e32 v1, v131, v1
	ds_write2_b32 v100, v0, v1 offset0:112 offset1:172
	v_add_f32_e32 v1, v110, v84
	v_add_f32_e32 v0, v130, v110
	v_fmac_f32_e32 v130, -0.5, v1
	v_sub_f32_e32 v1, v109, v86
	v_add_f32_e32 v93, v7, v6
	v_fmamk_f32 v7, v1, 0xbf5db3d7, v130
	v_fmac_f32_e32 v130, 0x3f5db3d7, v1
	v_mul_f32_e32 v1, -0.5, v105
	v_add_f32_e32 v0, v0, v84
	v_add_f32_e32 v2, v125, v95
	v_mul_f32_e32 v6, 0xbf5db3d7, v108
	v_fmac_f32_e32 v1, 0xbf5db3d7, v68
	ds_write2_b32 v96, v77, v93 offset1:60
	v_fmac_f32_e32 v6, 0.5, v115
	v_add_f32_e32 v77, v0, v2
	v_sub_f32_e32 v0, v0, v2
	v_add_f32_e32 v2, v130, v1
	ds_write2_b32 v107, v2, v0 offset0:120 offset1:180
	v_sub_f32_e32 v0, v7, v6
	v_sub_f32_e32 v1, v130, v1
	ds_write2_b32 v5, v0, v1 offset0:112 offset1:172
	v_add_f32_e32 v1, v114, v85
	v_add_f32_e32 v0, v128, v114
	v_fmac_f32_e32 v128, -0.5, v1
	v_sub_f32_e32 v1, v113, v138
	v_add_f32_e32 v84, v7, v6
	v_fmamk_f32 v6, v1, 0xbf5db3d7, v128
	v_fmac_f32_e32 v128, 0x3f5db3d7, v1
	v_mul_f32_e32 v1, -0.5, v112
	v_add_f32_e32 v0, v0, v85
	v_add_f32_e32 v2, v99, v94
	v_mul_f32_e32 v5, 0xbf5db3d7, v127
	v_fmac_f32_e32 v1, 0xbf5db3d7, v111
	v_fmac_f32_e32 v5, 0.5, v145
	v_add_f32_e32 v7, v0, v2
	v_sub_f32_e32 v0, v0, v2
	v_add_f32_e32 v2, v128, v1
	ds_write2_b32 v107, v77, v84 offset1:60
	ds_write2_b32 v106, v2, v0 offset0:120 offset1:180
	v_sub_f32_e32 v0, v6, v5
	v_sub_f32_e32 v1, v128, v1
	ds_write2_b32 v3, v0, v1 offset0:112 offset1:172
	v_add_f32_e32 v1, v78, v23
	v_add_f32_e32 v0, v129, v78
	v_fmac_f32_e32 v129, -0.5, v1
	v_sub_f32_e32 v1, v22, v82
	v_add_f32_e32 v68, v6, v5
	v_fmamk_f32 v5, v1, 0xbf5db3d7, v129
	v_fmac_f32_e32 v129, 0x3f5db3d7, v1
	v_mul_f32_e32 v1, -0.5, v92
	v_add_f32_e32 v0, v0, v23
	v_add_f32_e32 v2, v98, v122
	v_mul_f32_e32 v3, 0xbf5db3d7, v117
	v_fmac_f32_e32 v1, 0xbf5db3d7, v80
	v_fmac_f32_e32 v3, 0.5, v146
	v_add_f32_e32 v6, v0, v2
	v_sub_f32_e32 v0, v0, v2
	v_add_f32_e32 v2, v129, v1
	ds_write2_b32 v106, v7, v68 offset1:60
	ds_write2_b32 v116, v2, v0 offset0:120 offset1:180
	v_sub_f32_e32 v0, v5, v3
	v_sub_f32_e32 v1, v129, v1
	v_add_f32_e32 v7, v5, v3
	ds_write2_b32 v4, v0, v1 offset0:112 offset1:172
	v_lshl_add_u64 v[4:5], v[32:33], 3, s[8:9]
	ds_write2_b32 v116, v6, v7 offset1:60
	s_waitcnt lgkmcnt(0)
	s_barrier
	global_load_dwordx2 v[22:23], v[4:5], off offset:2800
	v_lshl_add_u64 v[2:3], v[48:49], 3, s[8:9]
	global_load_dwordx2 v[84:85], v[2:3], off offset:2800
	v_lshl_add_u64 v[0:1], v[66:67], 3, s[8:9]
	global_load_dwordx2 v[66:67], v[0:1], off offset:2800
	s_movk_i32 s0, 0x48
	v_add_u32_e32 v6, 0xffffffb8, v32
	v_cmp_gt_u32_e64 s[0:1], s0, v32
	global_load_dwordx2 v[94:95], v[4:5], off offset:2992
	global_load_dwordx2 v[96:97], v[4:5], off offset:3760
	v_cndmask_b32_e64 v68, v6, v51, s[0:1]
	v_lshl_add_u64 v[92:93], v[68:69], 3, s[8:9]
	v_add_co_u32_e64 v6, s[0:1], s5, v4
	global_load_dwordx2 v[92:93], v[92:93], off offset:2800
	s_nop 0
	v_addc_co_u32_e64 v7, s[0:1], 0, v5, s[0:1]
	s_movk_i32 s0, 0x2d83
	s_nop 0
	v_mul_u32_u24_sdwa v33, v42, s0 dst_sel:DWORD dst_unused:UNUSED_PAD src0_sel:WORD_0 src1_sel:DWORD
	v_lshrrev_b32_e32 v33, 22, v33
	v_mul_u32_u24_sdwa v77, v52, s0 dst_sel:DWORD dst_unused:UNUSED_PAD src0_sel:WORD_0 src1_sel:DWORD
	v_mul_lo_u16_e32 v49, 0x168, v33
	v_lshrrev_b32_e32 v77, 22, v77
	v_sub_u16_e32 v49, v42, v49
	v_mul_lo_u16_e32 v77, 0x168, v77
	v_lshlrev_b32_e32 v51, 3, v49
	v_sub_u16_e32 v77, v52, v77
	v_lshlrev_b32_e32 v78, 3, v77
	global_load_dwordx2 v[98:99], v[6:7], off offset:432
	global_load_dwordx2 v[104:105], v51, s[8:9] offset:2800
	global_load_dwordx2 v[106:107], v78, s[8:9] offset:2800
	v_mul_u32_u24_sdwa v51, v38, s0 dst_sel:DWORD dst_unused:UNUSED_PAD src0_sel:WORD_0 src1_sel:DWORD
	v_mul_u32_u24_sdwa v80, v44, s0 dst_sel:DWORD dst_unused:UNUSED_PAD src0_sel:WORD_0 src1_sel:DWORD
	v_lshrrev_b32_e32 v51, 22, v51
	v_lshrrev_b32_e32 v80, 22, v80
	v_mul_lo_u16_e32 v51, 0x168, v51
	v_mul_lo_u16_e32 v80, 0x168, v80
	v_sub_u16_e32 v51, v38, v51
	v_sub_u16_e32 v80, v44, v80
	v_lshlrev_b32_e32 v78, 3, v51
	v_lshlrev_b32_e32 v82, 3, v80
	v_mul_u32_u24_sdwa v86, v54, s0 dst_sel:DWORD dst_unused:UNUSED_PAD src0_sel:WORD_0 src1_sel:DWORD
	v_lshrrev_b32_e32 v86, 22, v86
	global_load_dwordx2 v[108:109], v78, s[8:9] offset:2800
	global_load_dwordx2 v[110:111], v82, s[8:9] offset:2800
	v_mul_u32_u24_sdwa v82, v40, s0 dst_sel:DWORD dst_unused:UNUSED_PAD src0_sel:WORD_0 src1_sel:DWORD
	v_mul_lo_u16_e32 v78, 0x168, v86
	v_lshrrev_b32_e32 v82, 22, v82
	v_sub_u16_e32 v78, v54, v78
	v_mul_lo_u16_e32 v82, 0x168, v82
	v_lshlrev_b32_e32 v100, 3, v78
	v_sub_u16_e32 v82, v40, v82
	global_load_dwordx2 v[112:113], v100, s[8:9] offset:2800
	v_lshlrev_b32_e32 v100, 3, v82
	global_load_dwordx2 v[114:115], v100, s[8:9] offset:2800
	v_mul_u32_u24_sdwa v100, v46, s0 dst_sel:DWORD dst_unused:UNUSED_PAD src0_sel:WORD_0 src1_sel:DWORD
	v_lshrrev_b32_e32 v100, 22, v100
	v_mul_lo_u16_e32 v100, 0x168, v100
	v_sub_u16_e32 v100, v46, v100
	v_lshlrev_b32_e32 v102, 3, v100
	global_load_dwordx2 v[116:117], v102, s[8:9] offset:2800
	v_mul_u32_u24_sdwa v102, v56, s0 dst_sel:DWORD dst_unused:UNUSED_PAD src0_sel:WORD_0 src1_sel:DWORD
	v_lshrrev_b32_e32 v102, 22, v102
	v_mul_lo_u16_e32 v102, 0x168, v102
	v_sub_u16_e32 v102, v56, v102
	v_lshlrev_b32_e32 v118, 3, v102
	global_load_dwordx2 v[118:119], v118, s[8:9] offset:2800
	ds_read2_b32 v[122:123], v87 offset0:32 offset1:128
	s_movk_i32 s0, 0x47
	v_cmp_lt_u32_e64 s[0:1], s0, v32
	v_lshl_add_u32 v80, v80, 2, 0
	s_waitcnt vmcnt(14) lgkmcnt(0)
	v_mul_f32_e32 v121, v122, v23
	v_mul_f32_e32 v124, v20, v23
	v_fma_f32 v121, v20, v22, -v121
	v_fmac_f32_e32 v124, v122, v22
	ds_read2_b32 v[22:23], v142 offset0:96 offset1:192
	s_waitcnt vmcnt(13)
	v_mul_f32_e32 v20, v123, v85
	v_fma_f32 v122, v21, v84, -v20
	v_mul_f32_e32 v85, v21, v85
	v_fmac_f32_e32 v85, v123, v84
	s_waitcnt vmcnt(12) lgkmcnt(0)
	v_mul_f32_e32 v20, v22, v67
	v_fma_f32 v84, v18, v66, -v20
	ds_read2_b32 v[20:21], v137 offset0:32 offset1:128
	v_mul_f32_e32 v123, v18, v67
	s_waitcnt vmcnt(9)
	v_mul_f32_e32 v18, v23, v93
	v_fmac_f32_e32 v123, v22, v66
	v_fma_f32 v22, v19, v92, -v18
	v_mul_f32_e32 v93, v19, v93
	s_waitcnt lgkmcnt(0)
	v_mul_f32_e32 v18, v20, v95
	v_fmac_f32_e32 v93, v23, v92
	v_fma_f32 v23, v16, v94, -v18
	ds_read2_b32 v[18:19], v75 offset0:96 offset1:192
	v_mul_f32_e32 v92, v16, v95
	v_mul_f32_e32 v16, v21, v97
	v_fmac_f32_e32 v92, v20, v94
	v_fma_f32 v20, v17, v96, -v16
	v_mul_f32_e32 v94, v17, v97
	s_waitcnt vmcnt(8) lgkmcnt(0)
	v_mul_f32_e32 v16, v18, v99
	v_fmac_f32_e32 v94, v21, v96
	v_fma_f32 v21, v14, v98, -v16
	ds_read2_b32 v[16:17], v83 offset0:32 offset1:128
	v_mul_f32_e32 v95, v14, v99
	s_waitcnt vmcnt(7)
	v_mul_f32_e32 v14, v19, v105
	v_fmac_f32_e32 v95, v18, v98
	v_fma_f32 v18, v15, v104, -v14
	v_mul_f32_e32 v96, v15, v105
	s_waitcnt vmcnt(6) lgkmcnt(0)
	v_mul_f32_e32 v14, v16, v107
	v_fmac_f32_e32 v96, v19, v104
	v_fma_f32 v19, v12, v106, -v14
	ds_read2_b32 v[14:15], v39 offset0:96 offset1:192
	v_mul_f32_e32 v97, v12, v107
	s_waitcnt vmcnt(5)
	;; [unrolled: 11-line block ×3, first 2 shown]
	v_mul_f32_e32 v10, v15, v113
	v_fma_f32 v10, v11, v112, -v10
	v_mul_f32_e32 v104, v11, v113
	s_waitcnt vmcnt(2) lgkmcnt(0)
	v_mul_f32_e32 v11, v12, v115
	v_fma_f32 v11, v8, v114, -v11
	v_mul_f32_e32 v105, v8, v115
	v_fmac_f32_e32 v99, v14, v110
	v_fmac_f32_e32 v104, v15, v112
	s_waitcnt vmcnt(1)
	v_mul_f32_e32 v8, v13, v117
	v_fmac_f32_e32 v105, v12, v114
	v_fma_f32 v8, v9, v116, -v8
	v_mul_f32_e32 v106, v9, v117
	ds_read_b32 v9, v120 offset:11136
	ds_read_b32 v107, v71
	ds_read_b32 v108, v79
	;; [unrolled: 1-line block ×7, first 2 shown]
	v_fmac_f32_e32 v106, v13, v116
	s_waitcnt vmcnt(0)
	v_mul_f32_e32 v113, v76, v119
	s_waitcnt lgkmcnt(7)
	v_mul_f32_e32 v13, v9, v119
	v_fmac_f32_e32 v113, v9, v118
	v_sub_f32_e32 v9, v74, v121
	v_fma_f32 v14, v74, 2.0, -v9
	v_fma_f32 v13, v76, v118, -v13
	ds_read_b32 v114, v45
	ds_read_b32 v115, v43
	;; [unrolled: 1-line block ×8, first 2 shown]
	s_waitcnt lgkmcnt(0)
	s_barrier
	ds_write_b32 v120, v14
	ds_write_b32 v120, v9 offset:1440
	v_sub_f32_e32 v9, v73, v122
	v_fma_f32 v14, v73, 2.0, -v9
	ds_write_b32 v45, v14
	ds_write_b32 v45, v9 offset:1440
	v_sub_f32_e32 v9, v72, v84
	v_fma_f32 v14, v72, 2.0, -v9
	ds_write_b32 v43, v14
	ds_write_b32 v43, v9 offset:1440
	v_mov_b32_e32 v9, 0xb40
	v_cndmask_b32_e64 v9, 0, v9, s[0:1]
	v_lshlrev_b32_e32 v14, 2, v68
	v_add3_u32 v68, 0, v9, v14
	v_sub_f32_e32 v9, v70, v22
	v_fma_f32 v14, v70, 2.0, -v9
	ds_write_b32 v68, v14
	ds_write_b32 v68, v9 offset:1440
	v_sub_f32_e32 v9, v30, v23
	v_fma_f32 v14, v30, 2.0, -v9
	v_sub_f32_e32 v15, v57, v20
	v_lshl_add_u32 v30, v32, 2, 0
	v_fma_f32 v20, v57, 2.0, -v15
	v_add_u32_e32 v84, 0xa00, v30
	ds_write2_b32 v84, v14, v20 offset0:104 offset1:200
	v_sub_f32_e32 v14, v29, v21
	v_fma_f32 v20, v29, 2.0, -v14
	v_add_u32_e32 v21, 0xe00, v30
	ds_write2_b32 v21, v20, v9 offset0:40 offset1:208
	v_add_u32_e32 v20, 0x1200, v30
	ds_write2_b32 v20, v15, v14 offset0:48 offset1:144
	v_mul_u32_u24_e32 v9, 0xb40, v33
	v_lshlrev_b32_e32 v14, 2, v49
	v_add3_u32 v29, 0, v9, v14
	v_sub_f32_e32 v9, v28, v18
	v_fma_f32 v14, v28, 2.0, -v9
	ds_write_b32 v29, v14
	ds_write_b32 v29, v9 offset:1440
	v_sub_f32_e32 v9, v47, v19
	v_fma_f32 v14, v47, 2.0, -v9
	v_lshl_add_u32 v28, v77, 2, 0
	ds_write_b32 v28, v14 offset:5760
	ds_write_b32 v28, v9 offset:7200
	v_sub_f32_e32 v9, v31, v16
	v_fma_f32 v14, v31, 2.0, -v9
	v_lshl_add_u32 v77, v51, 2, 0
	ds_write_b32 v77, v14 offset:5760
	ds_write_b32 v77, v9 offset:7200
	v_sub_f32_e32 v9, v55, v17
	v_fma_f32 v14, v55, 2.0, -v9
	ds_write_b32 v80, v14 offset:5760
	ds_write_b32 v80, v9 offset:7200
	v_mul_u32_u24_e32 v9, 0xb40, v86
	v_lshlrev_b32_e32 v14, 2, v78
	v_add3_u32 v78, 0, v9, v14
	v_sub_f32_e32 v9, v27, v10
	v_fma_f32 v10, v27, 2.0, -v9
	ds_write_b32 v78, v10
	ds_write_b32 v78, v9 offset:1440
	v_sub_f32_e32 v9, v26, v11
	v_fma_f32 v10, v26, 2.0, -v9
	v_lshl_add_u32 v26, v82, 2, 0
	v_sub_f32_e32 v8, v25, v8
	ds_write_b32 v26, v10 offset:8640
	ds_write_b32 v26, v9 offset:10080
	v_fma_f32 v9, v25, 2.0, -v8
	v_lshl_add_u32 v25, v100, 2, 0
	ds_write_b32 v25, v9 offset:8640
	ds_write_b32 v25, v8 offset:10080
	v_sub_f32_e32 v8, v24, v13
	v_sub_f32_e32 v27, v12, v124
	v_fma_f32 v9, v24, 2.0, -v8
	v_lshl_add_u32 v24, v102, 2, 0
	v_fma_f32 v82, v12, 2.0, -v27
	ds_write_b32 v24, v9 offset:8640
	ds_write_b32 v24, v8 offset:10080
	s_waitcnt lgkmcnt(0)
	s_barrier
	ds_read_b32 v86, v120
	ds_read_b32 v67, v71
	;; [unrolled: 1-line block ×15, first 2 shown]
	ds_read_b32 v100, v120 offset:11136
	ds_read2_b32 v[22:23], v87 offset0:32 offset1:128
	ds_read2_b32 v[18:19], v142 offset0:96 offset1:192
	;; [unrolled: 1-line block ×7, first 2 shown]
	s_waitcnt lgkmcnt(0)
	s_barrier
	ds_write_b32 v120, v82
	ds_write_b32 v120, v27 offset:1440
	v_sub_f32_e32 v27, v114, v85
	v_fma_f32 v82, v114, 2.0, -v27
	ds_write_b32 v45, v82
	ds_write_b32 v45, v27 offset:1440
	v_sub_f32_e32 v27, v115, v123
	v_fma_f32 v82, v115, 2.0, -v27
	;; [unrolled: 4-line block ×3, first 2 shown]
	ds_write_b32 v68, v82
	ds_write_b32 v68, v27 offset:1440
	v_sub_f32_e32 v27, v109, v92
	v_sub_f32_e32 v82, v112, v94
	v_fma_f32 v68, v109, 2.0, -v27
	v_fma_f32 v85, v112, 2.0, -v82
	ds_write2_b32 v84, v68, v85 offset0:104 offset1:200
	v_sub_f32_e32 v68, v107, v95
	v_fma_f32 v84, v107, 2.0, -v68
	ds_write2_b32 v21, v84, v27 offset0:40 offset1:208
	ds_write2_b32 v20, v82, v68 offset0:48 offset1:144
	v_sub_f32_e32 v20, v108, v96
	v_fma_f32 v21, v108, 2.0, -v20
	ds_write_b32 v29, v21
	ds_write_b32 v29, v20 offset:1440
	v_sub_f32_e32 v20, v116, v97
	v_fma_f32 v21, v116, 2.0, -v20
	ds_write_b32 v28, v21 offset:5760
	ds_write_b32 v28, v20 offset:7200
	v_sub_f32_e32 v20, v117, v98
	v_fma_f32 v21, v117, 2.0, -v20
	ds_write_b32 v77, v21 offset:5760
	;; [unrolled: 4-line block ×3, first 2 shown]
	ds_write_b32 v80, v20 offset:7200
	v_sub_f32_e32 v20, v118, v104
	v_fma_f32 v21, v118, 2.0, -v20
	ds_write_b32 v78, v21
	ds_write_b32 v78, v20 offset:1440
	v_sub_f32_e32 v20, v119, v105
	v_fma_f32 v21, v119, 2.0, -v20
	ds_write_b32 v26, v21 offset:8640
	ds_write_b32 v26, v20 offset:10080
	v_sub_f32_e32 v20, v121, v106
	v_fma_f32 v21, v121, 2.0, -v20
	ds_write_b32 v25, v21 offset:8640
	;; [unrolled: 4-line block ×3, first 2 shown]
	ds_write_b32 v24, v20 offset:10080
	s_waitcnt lgkmcnt(0)
	s_barrier
	global_load_dwordx2 v[26:27], v[6:7], off offset:1584
	v_add_co_u32_e64 v20, s[0:1], s5, v2
	v_add_u32_e32 v112, 0x270, v32
	s_nop 0
	v_addc_co_u32_e64 v21, s[0:1], 0, v3, s[0:1]
	global_load_dwordx2 v[84:85], v[20:21], off offset:1584
	v_add_co_u32_e64 v20, s[0:1], s5, v0
	v_mov_b32_e32 v113, v69
	s_nop 0
	v_addc_co_u32_e64 v21, s[0:1], 0, v1, s[0:1]
	v_add_co_u32_e64 v24, s[0:1], s5, v64
	v_lshl_add_u64 v[112:113], v[112:113], 3, s[8:9]
	s_nop 0
	v_addc_co_u32_e64 v25, s[0:1], 0, v65, s[0:1]
	v_add_co_u32_e64 v28, s[0:1], s5, v60
	s_waitcnt vmcnt(1)
	v_mul_f32_e32 v78, v22, v27
	v_addc_co_u32_e64 v29, s[0:1], 0, v61, s[0:1]
	global_load_dwordx2 v[92:93], v[20:21], off offset:1584
	global_load_dwordx2 v[94:95], v[24:25], off offset:1584
	;; [unrolled: 1-line block ×3, first 2 shown]
	v_subrev_u32_e32 v20, 48, v32
	v_cmp_gt_u32_e64 s[0:1], 48, v32
	v_lshl_add_u64 v[28:29], v[62:63], 3, s[8:9]
	s_waitcnt vmcnt(3)
	v_mul_f32_e32 v102, v23, v85
	v_cndmask_b32_e64 v68, v20, v42, s[0:1]
	v_add_co_u32_e64 v20, s[0:1], s5, v28
	v_lshl_add_u64 v[24:25], v[68:69], 3, s[8:9]
	s_nop 0
	v_addc_co_u32_e64 v21, s[0:1], 0, v29, s[0:1]
	global_load_dwordx2 v[62:63], v[20:21], off offset:1584
	v_lshl_add_u64 v[20:21], v[58:59], 3, s[8:9]
	v_add_co_u32_e64 v58, s[0:1], s5, v20
	s_nop 1
	v_addc_co_u32_e64 v59, s[0:1], 0, v21, s[0:1]
	global_load_dwordx2 v[58:59], v[58:59], off offset:1584
	v_add_co_u32_e64 v24, s[0:1], s5, v24
	s_nop 1
	v_addc_co_u32_e64 v25, s[0:1], 0, v25, s[0:1]
	global_load_dwordx2 v[98:99], v[24:25], off offset:1584
	global_load_dwordx2 v[104:105], v[6:7], off offset:1968
	;; [unrolled: 1-line block ×4, first 2 shown]
	v_add_co_u32_e64 v24, s[0:1], s4, v4
	v_add_u32_e32 v6, 0x210, v32
	v_mov_b32_e32 v7, v69
	v_addc_co_u32_e64 v25, s[0:1], 0, v5, s[0:1]
	v_lshl_add_u64 v[6:7], v[6:7], 3, s[8:9]
	v_add_co_u32_e64 v6, s[0:1], s5, v6
	global_load_dwordx2 v[4:5], v[24:25], off offset:176
	global_load_dwordx2 v[110:111], v[24:25], off offset:944
	v_addc_co_u32_e64 v7, s[0:1], 0, v7, s[0:1]
	v_add_co_u32_e64 v112, s[0:1], s5, v112
	ds_read2_b32 v[114:115], v87 offset0:32 offset1:128
	s_nop 0
	v_addc_co_u32_e64 v113, s[0:1], 0, v113, s[0:1]
	global_load_dwordx2 v[112:113], v[112:113], off offset:1584
	v_cmp_lt_u32_e64 s[0:1], 47, v32
	global_load_dwordx2 v[6:7], v[6:7], off offset:1584
	s_waitcnt lgkmcnt(0)
	v_mul_f32_e32 v77, v114, v27
	v_fma_f32 v77, v22, v26, -v77
	v_fmac_f32_e32 v78, v114, v26
	ds_read2_b32 v[26:27], v142 offset0:96 offset1:192
	v_mul_f32_e32 v22, v115, v85
	v_fma_f32 v80, v23, v84, -v22
	v_fmac_f32_e32 v102, v115, v84
	s_waitcnt vmcnt(12) lgkmcnt(0)
	v_mul_f32_e32 v22, v26, v93
	v_fma_f32 v82, v18, v92, -v22
	ds_read2_b32 v[22:23], v137 offset0:32 offset1:128
	v_mul_f32_e32 v93, v18, v93
	s_waitcnt vmcnt(11)
	v_mul_f32_e32 v18, v27, v95
	v_fmac_f32_e32 v93, v26, v92
	v_fma_f32 v26, v19, v94, -v18
	v_mul_f32_e32 v92, v19, v95
	s_waitcnt vmcnt(10) lgkmcnt(0)
	v_mul_f32_e32 v18, v22, v97
	v_fmac_f32_e32 v92, v27, v94
	v_fma_f32 v27, v16, v96, -v18
	ds_read2_b32 v[18:19], v75 offset0:96 offset1:192
	v_mul_f32_e32 v94, v16, v97
	s_waitcnt vmcnt(9)
	v_mul_f32_e32 v16, v23, v63
	v_fmac_f32_e32 v94, v22, v96
	v_fma_f32 v22, v17, v62, -v16
	v_mul_f32_e32 v63, v17, v63
	v_fmac_f32_e32 v63, v23, v62
	s_waitcnt vmcnt(8) lgkmcnt(0)
	v_mul_f32_e32 v16, v18, v59
	v_fma_f32 v23, v14, v58, -v16
	ds_read2_b32 v[16:17], v83 offset0:32 offset1:128
	v_mul_f32_e32 v59, v14, v59
	s_waitcnt vmcnt(7)
	v_mul_f32_e32 v14, v19, v99
	v_fmac_f32_e32 v59, v18, v58
	v_fma_f32 v18, v15, v98, -v14
	v_mul_f32_e32 v95, v15, v99
	s_waitcnt vmcnt(6) lgkmcnt(0)
	v_mul_f32_e32 v14, v16, v105
	v_fmac_f32_e32 v95, v19, v98
	v_fma_f32 v19, v12, v104, -v14
	ds_read2_b32 v[14:15], v39 offset0:96 offset1:192
	v_mul_f32_e32 v96, v12, v105
	s_waitcnt vmcnt(5)
	v_mul_f32_e32 v12, v17, v107
	v_fmac_f32_e32 v96, v16, v104
	v_fma_f32 v16, v13, v106, -v12
	v_mul_f32_e32 v97, v13, v107
	s_waitcnt vmcnt(4) lgkmcnt(0)
	v_mul_f32_e32 v12, v14, v109
	v_fmac_f32_e32 v97, v17, v106
	v_fma_f32 v17, v10, v108, -v12
	ds_read2_b32 v[12:13], v41 offset0:32 offset1:128
	v_mul_f32_e32 v98, v10, v109
	s_waitcnt vmcnt(3)
	v_mul_f32_e32 v10, v15, v5
	v_mul_f32_e32 v5, v11, v5
	v_fma_f32 v10, v11, v4, -v10
	v_fmac_f32_e32 v5, v15, v4
	s_waitcnt vmcnt(2) lgkmcnt(0)
	v_mul_f32_e32 v4, v12, v111
	v_fma_f32 v4, v8, v110, -v4
	v_mul_f32_e32 v11, v8, v111
	s_waitcnt vmcnt(0)
	v_mul_f32_e32 v8, v13, v7
	v_mul_f32_e32 v7, v9, v7
	v_fmac_f32_e32 v11, v12, v110
	v_fma_f32 v8, v9, v6, -v8
	v_fmac_f32_e32 v7, v13, v6
	ds_read_b32 v6, v120 offset:11136
	ds_read_b32 v13, v71
	ds_read_b32 v99, v79
	;; [unrolled: 1-line block ×7, first 2 shown]
	s_waitcnt lgkmcnt(7)
	v_mul_f32_e32 v12, v6, v113
	v_fma_f32 v12, v100, v112, -v12
	v_mul_f32_e32 v100, v100, v113
	v_fmac_f32_e32 v100, v6, v112
	v_sub_f32_e32 v6, v86, v77
	v_fmac_f32_e32 v98, v14, v108
	v_fma_f32 v14, v86, 2.0, -v6
	ds_read_b32 v108, v53
	ds_read_b32 v109, v81
	;; [unrolled: 1-line block ×8, first 2 shown]
	s_waitcnt lgkmcnt(0)
	s_barrier
	ds_write_b32 v120, v14
	ds_write_b32 v120, v6 offset:2880
	v_sub_f32_e32 v6, v76, v80
	v_fma_f32 v14, v76, 2.0, -v6
	ds_write_b32 v45, v14
	ds_write_b32 v45, v6 offset:2880
	v_sub_f32_e32 v6, v73, v82
	v_fma_f32 v14, v73, 2.0, -v6
	;; [unrolled: 4-line block ×6, first 2 shown]
	ds_write_b32 v71, v14
	ds_write_b32 v71, v6 offset:2880
	v_mov_b32_e32 v6, 0x1680
	v_cndmask_b32_e64 v6, 0, v6, s[0:1]
	v_lshlrev_b32_e32 v14, 2, v68
	v_add3_u32 v23, 0, v6, v14
	v_sub_f32_e32 v6, v51, v18
	v_fma_f32 v14, v51, 2.0, -v6
	ds_write_b32 v23, v14
	ds_write_b32 v23, v6 offset:2880
	v_sub_f32_e32 v6, v57, v19
	v_sub_f32_e32 v15, v55, v16
	v_fma_f32 v14, v57, 2.0, -v6
	v_fma_f32 v16, v55, 2.0, -v15
	v_add_u32_e32 v19, 0x1600, v30
	ds_write2_b32 v19, v14, v16 offset0:80 offset1:176
	v_sub_f32_e32 v14, v66, v17
	v_add_u32_e32 v17, 0x2400, v30
	v_sub_f32_e32 v10, v49, v10
	v_sub_f32_e32 v4, v33, v4
	v_add_u32_e32 v51, 0x2600, v30
	v_sub_f32_e32 v8, v47, v8
	ds_write2_b32 v17, v15, v14 offset1:96
	v_fma_f32 v15, v49, 2.0, -v10
	ds_write2_b32 v51, v10, v4 offset0:64 offset1:160
	v_fma_f32 v4, v33, 2.0, -v4
	v_fma_f32 v10, v47, 2.0, -v8
	v_add_u32_e32 v33, 0x1c00, v30
	ds_write2_b32 v33, v4, v10 offset0:80 offset1:176
	v_sub_f32_e32 v4, v31, v12
	v_fma_f32 v14, v66, 2.0, -v14
	v_add_u32_e32 v49, 0x1800, v30
	v_fma_f32 v10, v31, 2.0, -v4
	v_add_u32_e32 v31, 0x2000, v30
	v_add_u32_e32 v30, 0x2800, v30
	v_sub_f32_e32 v47, v9, v78
	ds_write2_b32 v49, v14, v15 offset0:144 offset1:240
	ds_write2_b32 v31, v10, v6 offset0:16 offset1:160
	ds_write2_b32 v30, v8, v4 offset0:128 offset1:224
	v_fma_f32 v55, v9, 2.0, -v47
	s_waitcnt lgkmcnt(0)
	s_barrier
	ds_read_b32 v86, v120
	ds_read2_b32 v[84:85], v87 offset0:32 offset1:128
	ds_read2_b32 v[76:77], v142 offset0:96 offset1:192
	;; [unrolled: 1-line block ×4, first 2 shown]
	ds_read_b32 v68, v71
	ds_read_b32 v62, v79
	ds_read2_b32 v[26:27], v83 offset0:32 offset1:128
	ds_read2_b32 v[14:15], v39 offset0:96 offset1:192
	;; [unrolled: 1-line block ×3, first 2 shown]
	ds_read_b32 v58, v53
	ds_read_b32 v22, v81
	;; [unrolled: 1-line block ×12, first 2 shown]
	ds_read_b32 v6, v120 offset:11136
	s_waitcnt lgkmcnt(0)
	s_barrier
	ds_write_b32 v120, v55
	ds_write_b32 v120, v47 offset:2880
	v_sub_f32_e32 v47, v114, v102
	v_fma_f32 v55, v114, 2.0, -v47
	ds_write_b32 v45, v55
	ds_write_b32 v45, v47 offset:2880
	v_sub_f32_e32 v45, v113, v93
	v_fma_f32 v47, v113, 2.0, -v45
	;; [unrolled: 4-line block ×7, first 2 shown]
	ds_write_b32 v23, v43
	ds_write_b32 v23, v13 offset:2880
	v_sub_f32_e32 v13, v108, v96
	v_sub_f32_e32 v43, v109, v97
	v_fma_f32 v23, v108, 2.0, -v13
	v_fma_f32 v45, v109, 2.0, -v43
	ds_write2_b32 v19, v23, v45 offset0:80 offset1:176
	v_sub_f32_e32 v19, v106, v98
	v_sub_f32_e32 v5, v110, v5
	;; [unrolled: 1-line block ×4, first 2 shown]
	ds_write2_b32 v17, v43, v19 offset1:96
	v_fma_f32 v17, v106, 2.0, -v19
	v_fma_f32 v19, v110, 2.0, -v5
	ds_write2_b32 v51, v5, v11 offset0:64 offset1:160
	v_fma_f32 v5, v111, 2.0, -v11
	v_fma_f32 v11, v112, 2.0, -v7
	ds_write2_b32 v33, v5, v11 offset0:80 offset1:176
	v_sub_f32_e32 v5, v115, v100
	v_fma_f32 v11, v115, 2.0, -v5
	s_movk_i32 s0, 0xb40
	ds_write2_b32 v49, v17, v19 offset0:144 offset1:240
	ds_write2_b32 v31, v11, v13 offset0:16 offset1:160
	;; [unrolled: 1-line block ×3, first 2 shown]
	s_waitcnt lgkmcnt(0)
	s_barrier
	s_and_saveexec_b64 s[10:11], vcc
	s_cbranch_execz .LBB0_15
; %bb.14:
	global_load_dwordx2 v[92:93], v[24:25], off offset:3248
	v_add_co_u32_e32 v2, vcc, s4, v2
	v_mul_lo_u32 v5, s3, v36
	v_mul_lo_u32 v11, s2, v37
	v_mad_u64_u32 v[94:95], s[2:3], s2, v36, 0
	v_mov_b32_e32 v55, v69
	ds_read2_b32 v[36:37], v39 offset0:96 offset1:192
	v_mov_b32_e32 v39, v69
	v_mov_b32_e32 v43, v69
	v_addc_co_u32_e32 v3, vcc, 0, v3, vcc
	v_mul_i32_i24_e32 v7, 0xffffffdc, v48
	v_mul_i32_i24_e32 v33, 0xffffffdc, v50
	v_add3_u32 v95, v95, v11, v5
	v_mov_b32_e32 v57, v69
	v_mov_b32_e32 v47, v69
	ds_read2_b32 v[24:25], v41 offset0:32 offset1:128
	v_mov_b32_e32 v41, v69
	v_lshl_add_u64 v[48:49], v[54:55], 3, s[8:9]
	v_mov_b32_e32 v45, v69
	v_lshl_add_u64 v[50:51], v[38:39], 3, s[8:9]
	ds_read2_b32 v[38:39], v83 offset0:32 offset1:128
	ds_read_b32 v5, v91
	ds_read_b32 v11, v90
	;; [unrolled: 1-line block ×6, first 2 shown]
	v_mov_b32_e32 v53, v69
	v_lshl_add_u64 v[54:55], v[42:43], 3, s[8:9]
	ds_read2_b32 v[42:43], v75 offset0:96 offset1:192
	ds_read_b32 v63, v79
	ds_read_b32 v69, v71
	;; [unrolled: 1-line block ×4, first 2 shown]
	global_load_dwordx2 v[90:91], v[2:3], off offset:3248
	v_add_co_u32_e32 v0, vcc, s4, v0
	v_add_u32_e32 v2, v103, v33
	v_add_u32_e32 v3, v101, v7
	v_addc_co_u32_e32 v1, vcc, 0, v1, vcc
	v_lshl_add_u64 v[30:31], v[56:57], 3, s[8:9]
	ds_read_b32 v19, v136
	ds_read_b32 v71, v126
	ds_read2_b32 v[56:57], v137 offset0:32 offset1:128
	ds_read2_b32 v[88:89], v142 offset0:96 offset1:192
	ds_read_b32 v81, v2
	ds_read_b32 v83, v3
	ds_read2_b32 v[96:97], v87 offset0:32 offset1:128
	ds_read_b32 v2, v120 offset:11136
	ds_read_b32 v87, v120
	v_lshrrev_b32_e32 v3, 5, v32
	s_mov_b32 s1, 0x5b05b06
	global_load_dwordx2 v[0:1], v[0:1], off offset:3248
	v_mul_hi_u32 v3, v3, s1
	v_mul_u32_u24_e32 v3, 0x5a0, v3
	v_sub_u32_e32 v3, v32, v3
	v_mad_u64_u32 v[98:99], s[2:3], s16, v3, 0
	v_mov_b32_e32 v100, v99
	v_mad_u64_u32 v[100:101], s[2:3], s17, v3, v[100:101]
	v_lshl_add_u64 v[94:95], v[94:95], 3, s[6:7]
	v_mov_b32_e32 v99, v100
	v_lshl_add_u64 v[34:35], v[34:35], 3, v[94:95]
	v_add_u32_e32 v3, 0x5a0, v3
	v_lshl_add_u64 v[94:95], v[98:99], 3, v[34:35]
	v_mad_u64_u32 v[98:99], s[2:3], s16, v3, 0
	v_mov_b32_e32 v100, v99
	v_mad_u64_u32 v[100:101], s[2:3], s17, v3, v[100:101]
	v_mov_b32_e32 v99, v100
	v_add_co_u32_e32 v64, vcc, s4, v64
	v_lshl_add_u64 v[98:99], v[98:99], 3, v[34:35]
	s_nop 0
	v_addc_co_u32_e32 v65, vcc, 0, v65, vcc
	v_add_co_u32_e32 v60, vcc, s4, v60
	v_add_u32_e32 v3, 0x60, v32
	s_nop 0
	v_addc_co_u32_e32 v61, vcc, 0, v61, vcc
	v_lshrrev_b32_e32 v7, 5, v3
	v_mul_hi_u32 v7, v7, s1
	v_mul_u32_u24_e32 v33, 0x5a0, v7
	v_sub_u32_e32 v3, v3, v33
	v_mad_u32_u24 v3, v7, s0, v3
	v_add_co_u32_e32 v28, vcc, s4, v28
	v_lshl_add_u64 v[52:53], v[52:53], 3, s[8:9]
	s_nop 0
	v_addc_co_u32_e32 v29, vcc, 0, v29, vcc
	v_add_co_u32_e32 v20, vcc, s4, v20
	s_waitcnt vmcnt(2) lgkmcnt(2)
	v_pk_mul_f32 v[100:101], v[92:93], v[96:97] op_sel_hi:[1,0]
	v_mov_b32_e32 v96, v97
	v_pk_fma_f32 v[102:103], v[84:85], v[92:93], v[100:101] op_sel:[0,0,1] op_sel_hi:[1,1,0] neg_lo:[0,0,1] neg_hi:[0,0,1]
	v_pk_fma_f32 v[92:93], v[84:85], v[92:93], v[100:101] op_sel:[0,0,1] op_sel_hi:[0,1,0]
	v_mov_b32_e32 v103, v93
	s_waitcnt lgkmcnt(0)
	v_pk_add_f32 v[92:93], v[86:87], v[102:103] neg_lo:[0,1] neg_hi:[0,1]
	v_addc_co_u32_e32 v21, vcc, 0, v21, vcc
	v_pk_fma_f32 v[86:87], v[86:87], 2.0, v[92:93] op_sel_hi:[1,0,1] neg_lo:[0,0,1] neg_hi:[0,0,1]
	global_store_dwordx2 v[94:95], v[86:87], off
	global_store_dwordx2 v[98:99], v[92:93], off
	global_load_dwordx2 v[64:65], v[64:65], off offset:3248
	v_mad_u64_u32 v[86:87], s[2:3], s16, v3, 0
	global_load_dwordx2 v[60:61], v[60:61], off offset:3248
	v_mov_b32_e32 v84, v87
	v_mad_u64_u32 v[92:93], s[2:3], s17, v3, v[84:85]
	v_add_u32_e32 v3, 0x5a0, v3
	v_mov_b32_e32 v87, v92
	v_mad_u64_u32 v[92:93], s[2:3], s16, v3, 0
	v_mov_b32_e32 v84, v93
	v_mad_u64_u32 v[94:95], s[2:3], s17, v3, v[84:85]
	v_add_u32_e32 v3, 0xc0, v32
	v_mov_b32_e32 v93, v94
	v_mov_b32_e32 v84, v85
	;; [unrolled: 1-line block ×3, first 2 shown]
	s_waitcnt vmcnt(5)
	v_pk_mul_f32 v[96:97], v[90:91], v[96:97] op_sel_hi:[1,0]
	v_lshrrev_b32_e32 v7, 5, v3
	v_pk_fma_f32 v[84:85], v[84:85], v[90:91], v[96:97] op_sel:[0,0,1] op_sel_hi:[1,1,0] neg_lo:[0,0,1] neg_hi:[0,0,1]
	v_pk_fma_f32 v[90:91], v[94:95], v[90:91], v[96:97] op_sel:[0,0,1] op_sel_hi:[0,1,0]
	v_mul_hi_u32 v7, v7, s1
	v_mov_b32_e32 v85, v91
	v_mul_u32_u24_e32 v33, 0x5a0, v7
	v_pk_add_f32 v[84:85], v[82:83], v[84:85] neg_lo:[0,1] neg_hi:[0,1]
	v_sub_u32_e32 v3, v3, v33
	v_lshl_add_u64 v[86:87], v[86:87], 3, v[34:35]
	v_pk_fma_f32 v[82:83], v[82:83], 2.0, v[84:85] op_sel_hi:[1,0,1] neg_lo:[0,0,1] neg_hi:[0,0,1]
	v_mad_u32_u24 v3, v7, s0, v3
	v_lshl_add_u64 v[92:93], v[92:93], 3, v[34:35]
	global_store_dwordx2 v[86:87], v[82:83], off
	global_store_dwordx2 v[92:93], v[84:85], off
	v_mad_u64_u32 v[82:83], s[2:3], s16, v3, 0
	v_mov_b32_e32 v84, v83
	v_mad_u64_u32 v[84:85], s[2:3], s17, v3, v[84:85]
	v_add_u32_e32 v3, 0x5a0, v3
	v_mov_b32_e32 v83, v84
	v_mad_u64_u32 v[84:85], s[2:3], s16, v3, 0
	v_mov_b32_e32 v86, v85
	v_mad_u64_u32 v[86:87], s[2:3], s17, v3, v[86:87]
	v_mov_b32_e32 v85, v86
	s_waitcnt vmcnt(6)
	v_pk_mul_f32 v[86:87], v[0:1], v[88:89] op_sel_hi:[1,0]
	v_lshl_add_u64 v[82:83], v[82:83], 3, v[34:35]
	v_pk_fma_f32 v[90:91], v[76:77], v[0:1], v[86:87] op_sel:[0,0,1] op_sel_hi:[1,1,0] neg_lo:[0,0,1] neg_hi:[0,0,1]
	v_pk_fma_f32 v[0:1], v[76:77], v[0:1], v[86:87] op_sel:[0,0,1] op_sel_hi:[0,1,0]
	v_mov_b32_e32 v91, v1
	v_pk_add_f32 v[0:1], v[80:81], v[90:91] neg_lo:[0,1] neg_hi:[0,1]
	v_lshl_add_u64 v[84:85], v[84:85], 3, v[34:35]
	v_pk_fma_f32 v[80:81], v[80:81], 2.0, v[0:1] op_sel_hi:[1,0,1] neg_lo:[0,0,1] neg_hi:[0,0,1]
	global_store_dwordx2 v[82:83], v[80:81], off
	global_store_dwordx2 v[84:85], v[0:1], off
	v_add_u32_e32 v0, 0x120, v32
	v_lshrrev_b32_e32 v1, 5, v0
	global_load_dwordx2 v[28:29], v[28:29], off offset:3248
	v_mul_hi_u32 v1, v1, s1
	v_mul_u32_u24_e32 v3, 0x5a0, v1
	v_sub_u32_e32 v0, v0, v3
	v_mad_u32_u24 v3, v1, s0, v0
	v_mad_u64_u32 v[0:1], s[2:3], s16, v3, 0
	v_mov_b32_e32 v76, v1
	v_mad_u64_u32 v[80:81], s[2:3], s17, v3, v[76:77]
	v_add_u32_e32 v3, 0x5a0, v3
	v_mov_b32_e32 v1, v80
	v_mad_u64_u32 v[80:81], s[2:3], s16, v3, 0
	v_mov_b32_e32 v76, v81
	v_mad_u64_u32 v[82:83], s[2:3], s17, v3, v[76:77]
	v_mov_b32_e32 v84, v89
	v_mov_b32_e32 v81, v82
	;; [unrolled: 1-line block ×4, first 2 shown]
	v_lshl_add_u64 v[0:1], v[0:1], 3, v[34:35]
	v_lshl_add_u64 v[80:81], v[80:81], 3, v[34:35]
	v_add_co_u32_e32 v54, vcc, s4, v54
	s_waitcnt vmcnt(6)
	v_pk_mul_f32 v[84:85], v[64:65], v[84:85] op_sel_hi:[1,0]
	v_addc_co_u32_e32 v55, vcc, 0, v55, vcc
	v_pk_fma_f32 v[76:77], v[76:77], v[64:65], v[84:85] op_sel:[0,0,1] op_sel_hi:[1,1,0] neg_lo:[0,0,1] neg_hi:[0,0,1]
	v_pk_fma_f32 v[64:65], v[82:83], v[64:65], v[84:85] op_sel:[0,0,1] op_sel_hi:[0,1,0]
	v_mov_b32_e32 v77, v65
	v_pk_add_f32 v[64:65], v[78:79], v[76:77] neg_lo:[0,1] neg_hi:[0,1]
	v_add_co_u32_e32 v52, vcc, s4, v52
	v_pk_fma_f32 v[76:77], v[78:79], 2.0, v[64:65] op_sel_hi:[1,0,1] neg_lo:[0,0,1] neg_hi:[0,0,1]
	global_store_dwordx2 v[0:1], v[76:77], off
	global_store_dwordx2 v[80:81], v[64:65], off
	global_load_dwordx2 v[20:21], v[20:21], off offset:3248
	v_add_u32_e32 v0, 0x180, v32
	v_lshrrev_b32_e32 v1, 5, v0
	v_mul_hi_u32 v1, v1, s1
	v_mul_u32_u24_e32 v3, 0x5a0, v1
	v_sub_u32_e32 v0, v0, v3
	v_mad_u32_u24 v3, v1, s0, v0
	v_mad_u64_u32 v[0:1], s[2:3], s16, v3, 0
	v_mov_b32_e32 v64, v1
	v_mad_u64_u32 v[64:65], s[2:3], s17, v3, v[64:65]
	v_add_u32_e32 v3, 0x5a0, v3
	v_mov_b32_e32 v1, v64
	v_mad_u64_u32 v[64:65], s[2:3], s16, v3, 0
	v_mov_b32_e32 v76, v65
	v_mad_u64_u32 v[76:77], s[2:3], s17, v3, v[76:77]
	v_mov_b32_e32 v65, v76
	s_waitcnt vmcnt(8)
	v_pk_mul_f32 v[76:77], v[60:61], v[56:57] op_sel_hi:[1,0]
	v_lshl_add_u64 v[0:1], v[0:1], 3, v[34:35]
	v_pk_fma_f32 v[78:79], v[72:73], v[60:61], v[76:77] op_sel:[0,0,1] op_sel_hi:[1,1,0] neg_lo:[0,0,1] neg_hi:[0,0,1]
	v_pk_fma_f32 v[60:61], v[72:73], v[60:61], v[76:77] op_sel:[0,0,1] op_sel_hi:[0,1,0]
	v_mov_b32_e32 v79, v61
	v_pk_add_f32 v[60:61], v[74:75], v[78:79] neg_lo:[0,1] neg_hi:[0,1]
	v_lshl_add_u64 v[64:65], v[64:65], 3, v[34:35]
	v_pk_fma_f32 v[74:75], v[74:75], 2.0, v[60:61] op_sel_hi:[1,0,1] neg_lo:[0,0,1] neg_hi:[0,0,1]
	global_store_dwordx2 v[0:1], v[74:75], off
	global_store_dwordx2 v[64:65], v[60:61], off
	global_load_dwordx2 v[54:55], v[54:55], off offset:3248
	v_addc_co_u32_e32 v53, vcc, 0, v53, vcc
	global_load_dwordx2 v[52:53], v[52:53], off offset:3248
	v_add_u32_e32 v0, 0x1e0, v32
	v_lshrrev_b32_e32 v1, 5, v0
	v_mul_hi_u32 v1, v1, s1
	v_mul_u32_u24_e32 v3, 0x5a0, v1
	v_sub_u32_e32 v0, v0, v3
	v_mad_u32_u24 v3, v1, s0, v0
	v_mad_u64_u32 v[0:1], s[2:3], s16, v3, 0
	v_mov_b32_e32 v56, v1
	v_mad_u64_u32 v[60:61], s[2:3], s17, v3, v[56:57]
	v_add_u32_e32 v3, 0x5a0, v3
	v_mov_b32_e32 v1, v60
	v_mad_u64_u32 v[60:61], s[2:3], s16, v3, 0
	v_mov_b32_e32 v56, v61
	v_mad_u64_u32 v[64:65], s[2:3], s17, v3, v[56:57]
	v_mov_b32_e32 v72, v57
	v_mov_b32_e32 v61, v64
	;; [unrolled: 1-line block ×4, first 2 shown]
	s_waitcnt vmcnt(7)
	v_pk_mul_f32 v[72:73], v[28:29], v[72:73] op_sel_hi:[1,0]
	v_lshl_add_u64 v[0:1], v[0:1], 3, v[34:35]
	v_pk_fma_f32 v[56:57], v[56:57], v[28:29], v[72:73] op_sel:[0,0,1] op_sel_hi:[1,1,0] neg_lo:[0,0,1] neg_hi:[0,0,1]
	v_pk_fma_f32 v[28:29], v[64:65], v[28:29], v[72:73] op_sel:[0,0,1] op_sel_hi:[0,1,0]
	v_mov_b32_e32 v57, v29
	v_pk_add_f32 v[28:29], v[70:71], v[56:57] neg_lo:[0,1] neg_hi:[0,1]
	v_lshl_add_u64 v[60:61], v[60:61], 3, v[34:35]
	v_pk_fma_f32 v[56:57], v[70:71], 2.0, v[28:29] op_sel_hi:[1,0,1] neg_lo:[0,0,1] neg_hi:[0,0,1]
	global_store_dwordx2 v[0:1], v[56:57], off
	global_store_dwordx2 v[60:61], v[28:29], off
	v_add_u32_e32 v0, 0x240, v32
	v_lshrrev_b32_e32 v1, 5, v0
	v_mul_hi_u32 v1, v1, s1
	v_mul_u32_u24_e32 v3, 0x5a0, v1
	v_sub_u32_e32 v0, v0, v3
	v_mad_u32_u24 v3, v1, s0, v0
	v_mad_u64_u32 v[0:1], s[2:3], s16, v3, 0
	v_mov_b32_e32 v28, v1
	v_mad_u64_u32 v[28:29], s[2:3], s17, v3, v[28:29]
	v_add_u32_e32 v3, 0x5a0, v3
	v_mov_b32_e32 v1, v28
	v_mad_u64_u32 v[28:29], s[2:3], s16, v3, 0
	v_mov_b32_e32 v56, v29
	v_mad_u64_u32 v[56:57], s[2:3], s17, v3, v[56:57]
	v_mov_b32_e32 v29, v56
	s_waitcnt vmcnt(6)
	v_pk_mul_f32 v[56:57], v[20:21], v[42:43] op_sel_hi:[1,0]
	v_lshl_add_u64 v[0:1], v[0:1], 3, v[34:35]
	v_pk_fma_f32 v[60:61], v[66:67], v[20:21], v[56:57] op_sel:[0,0,1] op_sel_hi:[1,1,0] neg_lo:[0,0,1] neg_hi:[0,0,1]
	v_pk_fma_f32 v[20:21], v[66:67], v[20:21], v[56:57] op_sel:[0,0,1] op_sel_hi:[0,1,0]
	v_mov_b32_e32 v61, v21
	v_pk_add_f32 v[20:21], v[68:69], v[60:61] neg_lo:[0,1] neg_hi:[0,1]
	v_lshl_add_u64 v[28:29], v[28:29], 3, v[34:35]
	v_pk_fma_f32 v[56:57], v[68:69], 2.0, v[20:21] op_sel_hi:[1,0,1] neg_lo:[0,0,1] neg_hi:[0,0,1]
	global_store_dwordx2 v[0:1], v[56:57], off
	global_store_dwordx2 v[28:29], v[20:21], off
	v_add_u32_e32 v0, 0x2a0, v32
	v_lshrrev_b32_e32 v1, 5, v0
	v_mul_hi_u32 v1, v1, s1
	v_mul_u32_u24_e32 v3, 0x5a0, v1
	v_sub_u32_e32 v0, v0, v3
	v_mad_u32_u24 v3, v1, s0, v0
	v_mad_u64_u32 v[0:1], s[2:3], s16, v3, 0
	v_mov_b32_e32 v20, v1
	v_mad_u64_u32 v[20:21], s[2:3], s17, v3, v[20:21]
	v_add_u32_e32 v3, 0x5a0, v3
	v_mov_b32_e32 v1, v20
	v_mad_u64_u32 v[20:21], s[2:3], s16, v3, 0
	v_mov_b32_e32 v28, v21
	v_mad_u64_u32 v[28:29], s[2:3], s17, v3, v[28:29]
	v_mov_b32_e32 v21, v28
	v_add_co_u32_e32 v28, vcc, s4, v50
	v_mov_b32_e32 v56, v43
	s_nop 0
	v_addc_co_u32_e32 v29, vcc, 0, v51, vcc
	global_load_dwordx2 v[28:29], v[28:29], off offset:3248
	v_mov_b32_e32 v42, v67
	v_mov_b32_e32 v50, v67
	s_waitcnt vmcnt(6)
	v_pk_mul_f32 v[56:57], v[54:55], v[56:57] op_sel_hi:[1,0]
	v_lshl_add_u64 v[0:1], v[0:1], 3, v[34:35]
	v_pk_fma_f32 v[42:43], v[42:43], v[54:55], v[56:57] op_sel:[0,0,1] op_sel_hi:[1,1,0] neg_lo:[0,0,1] neg_hi:[0,0,1]
	v_pk_fma_f32 v[50:51], v[50:51], v[54:55], v[56:57] op_sel:[0,0,1] op_sel_hi:[0,1,0]
	v_mov_b32_e32 v43, v51
	v_pk_add_f32 v[42:43], v[62:63], v[42:43] neg_lo:[0,1] neg_hi:[0,1]
	v_lshl_add_u64 v[20:21], v[20:21], 3, v[34:35]
	v_pk_fma_f32 v[50:51], v[62:63], 2.0, v[42:43] op_sel_hi:[1,0,1] neg_lo:[0,0,1] neg_hi:[0,0,1]
	global_store_dwordx2 v[0:1], v[50:51], off
	global_store_dwordx2 v[20:21], v[42:43], off
	v_add_u32_e32 v0, 0x300, v32
	v_lshrrev_b32_e32 v1, 5, v0
	v_mul_hi_u32 v1, v1, s1
	v_mul_u32_u24_e32 v3, 0x5a0, v1
	v_sub_u32_e32 v0, v0, v3
	v_mad_u32_u24 v3, v1, s0, v0
	v_mad_u64_u32 v[0:1], s[2:3], s16, v3, 0
	v_mov_b32_e32 v20, v1
	v_lshl_add_u64 v[44:45], v[44:45], 3, s[8:9]
	v_mad_u64_u32 v[20:21], s[2:3], s17, v3, v[20:21]
	v_mov_b32_e32 v1, v20
	v_add_co_u32_e32 v20, vcc, s4, v44
	v_add_u32_e32 v3, 0x5a0, v3
	s_nop 0
	v_addc_co_u32_e32 v21, vcc, 0, v45, vcc
	global_load_dwordx2 v[20:21], v[20:21], off offset:3248
	v_mad_u64_u32 v[42:43], s[2:3], s16, v3, 0
	v_mov_b32_e32 v44, v43
	v_mad_u64_u32 v[44:45], s[2:3], s17, v3, v[44:45]
	v_mov_b32_e32 v43, v44
	s_waitcnt vmcnt(8)
	v_pk_mul_f32 v[44:45], v[52:53], v[38:39] op_sel_hi:[1,0]
	v_lshl_add_u64 v[0:1], v[0:1], 3, v[34:35]
	v_pk_fma_f32 v[50:51], v[26:27], v[52:53], v[44:45] op_sel:[0,0,1] op_sel_hi:[1,1,0] neg_lo:[0,0,1] neg_hi:[0,0,1]
	v_pk_fma_f32 v[44:45], v[26:27], v[52:53], v[44:45] op_sel:[0,0,1] op_sel_hi:[0,1,0]
	v_mov_b32_e32 v51, v45
	v_pk_add_f32 v[44:45], v[58:59], v[50:51] neg_lo:[0,1] neg_hi:[0,1]
	v_lshl_add_u64 v[42:43], v[42:43], 3, v[34:35]
	v_pk_fma_f32 v[50:51], v[58:59], 2.0, v[44:45] op_sel_hi:[1,0,1] neg_lo:[0,0,1] neg_hi:[0,0,1]
	global_store_dwordx2 v[0:1], v[50:51], off
	global_store_dwordx2 v[42:43], v[44:45], off
	v_add_co_u32_e32 v44, vcc, s4, v48
	v_add_u32_e32 v0, 0x360, v32
	s_nop 0
	v_addc_co_u32_e32 v45, vcc, 0, v49, vcc
	global_load_dwordx2 v[44:45], v[44:45], off offset:3248
	v_lshrrev_b32_e32 v1, 5, v0
	v_mul_hi_u32 v1, v1, s1
	v_mul_u32_u24_e32 v3, 0x5a0, v1
	v_sub_u32_e32 v0, v0, v3
	v_mad_u32_u24 v3, v1, s0, v0
	v_mad_u64_u32 v[0:1], s[2:3], s16, v3, 0
	v_mov_b32_e32 v26, v1
	v_mad_u64_u32 v[42:43], s[2:3], s17, v3, v[26:27]
	v_add_u32_e32 v3, 0x5a0, v3
	v_mov_b32_e32 v1, v42
	v_mad_u64_u32 v[42:43], s[2:3], s16, v3, 0
	v_mov_b32_e32 v26, v43
	v_mad_u64_u32 v[48:49], s[2:3], s17, v3, v[26:27]
	v_mov_b32_e32 v43, v48
	v_mov_b32_e32 v48, v39
	;; [unrolled: 1-line block ×4, first 2 shown]
	v_lshl_add_u64 v[40:41], v[40:41], 3, s[8:9]
	v_add_co_u32_e32 v40, vcc, s4, v40
	v_lshl_add_u64 v[0:1], v[0:1], 3, v[34:35]
	s_nop 0
	v_addc_co_u32_e32 v41, vcc, 0, v41, vcc
	global_load_dwordx2 v[40:41], v[40:41], off offset:3248
	s_waitcnt vmcnt(7)
	v_pk_mul_f32 v[48:49], v[28:29], v[48:49] op_sel_hi:[1,0]
	v_lshl_add_u64 v[42:43], v[42:43], 3, v[34:35]
	v_pk_fma_f32 v[26:27], v[26:27], v[28:29], v[48:49] op_sel:[0,0,1] op_sel_hi:[1,1,0] neg_lo:[0,0,1] neg_hi:[0,0,1]
	v_pk_fma_f32 v[28:29], v[38:39], v[28:29], v[48:49] op_sel:[0,0,1] op_sel_hi:[0,1,0]
	v_mov_b32_e32 v27, v29
	v_pk_add_f32 v[26:27], v[22:23], v[26:27] neg_lo:[0,1] neg_hi:[0,1]
	v_lshl_add_u64 v[46:47], v[46:47], 3, s[8:9]
	v_pk_fma_f32 v[22:23], v[22:23], 2.0, v[26:27] op_sel_hi:[1,0,1] neg_lo:[0,0,1] neg_hi:[0,0,1]
	global_store_dwordx2 v[0:1], v[22:23], off
	global_store_dwordx2 v[42:43], v[26:27], off
	v_add_u32_e32 v0, 0x3c0, v32
	v_lshrrev_b32_e32 v1, 5, v0
	v_mul_hi_u32 v1, v1, s1
	v_mul_u32_u24_e32 v3, 0x5a0, v1
	v_sub_u32_e32 v0, v0, v3
	v_mad_u32_u24 v3, v1, s0, v0
	v_mad_u64_u32 v[0:1], s[2:3], s16, v3, 0
	v_mov_b32_e32 v22, v1
	v_mad_u64_u32 v[22:23], s[2:3], s17, v3, v[22:23]
	v_add_u32_e32 v3, 0x5a0, v3
	v_mov_b32_e32 v1, v22
	v_mad_u64_u32 v[22:23], s[2:3], s16, v3, 0
	v_mov_b32_e32 v26, v23
	v_mad_u64_u32 v[26:27], s[2:3], s17, v3, v[26:27]
	v_mov_b32_e32 v23, v26
	v_lshl_add_u64 v[0:1], v[0:1], 3, v[34:35]
	v_lshl_add_u64 v[22:23], v[22:23], 3, v[34:35]
	s_waitcnt vmcnt(6)
	v_pk_mul_f32 v[26:27], v[20:21], v[36:37] op_sel_hi:[1,0]
	s_nop 0
	v_pk_fma_f32 v[28:29], v[14:15], v[20:21], v[26:27] op_sel:[0,0,1] op_sel_hi:[1,1,0] neg_lo:[0,0,1] neg_hi:[0,0,1]
	v_pk_fma_f32 v[20:21], v[14:15], v[20:21], v[26:27] op_sel:[0,0,1] op_sel_hi:[0,1,0]
	v_mov_b32_e32 v29, v21
	v_pk_add_f32 v[20:21], v[18:19], v[28:29] neg_lo:[0,1] neg_hi:[0,1]
	v_mov_b32_e32 v26, v37
	v_pk_fma_f32 v[18:19], v[18:19], 2.0, v[20:21] op_sel_hi:[1,0,1] neg_lo:[0,0,1] neg_hi:[0,0,1]
	global_store_dwordx2 v[0:1], v[18:19], off
	global_store_dwordx2 v[22:23], v[20:21], off
	v_add_u32_e32 v0, 0x420, v32
	v_lshrrev_b32_e32 v1, 5, v0
	v_mul_hi_u32 v1, v1, s1
	v_mul_u32_u24_e32 v3, 0x5a0, v1
	v_sub_u32_e32 v0, v0, v3
	v_mad_u32_u24 v3, v1, s0, v0
	v_add_co_u32_e32 v20, vcc, s4, v46
	v_mad_u64_u32 v[0:1], s[2:3], s16, v3, 0
	s_nop 0
	v_addc_co_u32_e32 v21, vcc, 0, v47, vcc
	v_mov_b32_e32 v14, v1
	global_load_dwordx2 v[20:21], v[20:21], off offset:3248
	v_mad_u64_u32 v[18:19], s[2:3], s17, v3, v[14:15]
	v_add_u32_e32 v3, 0x5a0, v3
	v_mov_b32_e32 v1, v18
	v_mad_u64_u32 v[18:19], s[2:3], s16, v3, 0
	v_mov_b32_e32 v14, v19
	v_mad_u64_u32 v[22:23], s[2:3], s17, v3, v[14:15]
	v_mov_b32_e32 v19, v22
	v_mov_b32_e32 v14, v15
	;; [unrolled: 1-line block ×3, first 2 shown]
	s_waitcnt vmcnt(6)
	v_pk_mul_f32 v[26:27], v[44:45], v[26:27] op_sel_hi:[1,0]
	v_lshl_add_u64 v[0:1], v[0:1], 3, v[34:35]
	v_pk_fma_f32 v[14:15], v[14:15], v[44:45], v[26:27] op_sel:[0,0,1] op_sel_hi:[1,1,0] neg_lo:[0,0,1] neg_hi:[0,0,1]
	v_pk_fma_f32 v[22:23], v[22:23], v[44:45], v[26:27] op_sel:[0,0,1] op_sel_hi:[0,1,0]
	v_mov_b32_e32 v15, v23
	v_pk_add_f32 v[14:15], v[16:17], v[14:15] neg_lo:[0,1] neg_hi:[0,1]
	v_add_u32_e32 v3, 0x480, v32
	v_pk_fma_f32 v[16:17], v[16:17], 2.0, v[14:15] op_sel_hi:[1,0,1] neg_lo:[0,0,1] neg_hi:[0,0,1]
	v_lshl_add_u64 v[18:19], v[18:19], 3, v[34:35]
	global_store_dwordx2 v[0:1], v[16:17], off
	global_store_dwordx2 v[18:19], v[14:15], off
	v_lshrrev_b32_e32 v0, 5, v3
	v_mul_hi_u32 v7, v0, s1
	v_add_co_u32_e32 v0, vcc, s4, v30
	v_mul_u32_u24_e32 v14, 0x5a0, v7
	s_nop 0
	v_addc_co_u32_e32 v1, vcc, 0, v31, vcc
	global_load_dwordx2 v[0:1], v[0:1], off offset:3248
	v_sub_u32_e32 v3, v3, v14
	v_mad_u32_u24 v3, v7, s0, v3
	v_mad_u64_u32 v[14:15], s[2:3], s16, v3, 0
	v_mov_b32_e32 v16, v15
	v_mad_u64_u32 v[16:17], s[2:3], s17, v3, v[16:17]
	v_add_u32_e32 v3, 0x5a0, v3
	v_mov_b32_e32 v15, v16
	v_mad_u64_u32 v[16:17], s[2:3], s16, v3, 0
	v_mov_b32_e32 v18, v17
	v_mad_u64_u32 v[18:19], s[2:3], s17, v3, v[18:19]
	v_add_u32_e32 v3, 0x4e0, v32
	v_mov_b32_e32 v17, v18
	s_waitcnt vmcnt(8)
	v_pk_mul_f32 v[18:19], v[40:41], v[24:25] op_sel_hi:[1,0]
	v_lshrrev_b32_e32 v7, 5, v3
	v_pk_fma_f32 v[22:23], v[8:9], v[40:41], v[18:19] op_sel:[0,0,1] op_sel_hi:[1,1,0] neg_lo:[0,0,1] neg_hi:[0,0,1]
	v_pk_fma_f32 v[18:19], v[8:9], v[40:41], v[18:19] op_sel:[0,0,1] op_sel_hi:[0,1,0]
	v_mul_hi_u32 v7, v7, s1
	v_mov_b32_e32 v23, v19
	v_mul_u32_u24_e32 v8, 0x5a0, v7
	v_pk_add_f32 v[18:19], v[12:13], v[22:23] neg_lo:[0,1] neg_hi:[0,1]
	v_sub_u32_e32 v3, v3, v8
	v_lshl_add_u64 v[14:15], v[14:15], 3, v[34:35]
	v_pk_fma_f32 v[12:13], v[12:13], 2.0, v[18:19] op_sel_hi:[1,0,1] neg_lo:[0,0,1] neg_hi:[0,0,1]
	v_mad_u32_u24 v3, v7, s0, v3
	v_lshl_add_u64 v[16:17], v[16:17], 3, v[34:35]
	global_store_dwordx2 v[14:15], v[12:13], off
	global_store_dwordx2 v[16:17], v[18:19], off
	v_mad_u64_u32 v[12:13], s[2:3], s16, v3, 0
	v_mov_b32_e32 v8, v13
	v_mad_u64_u32 v[14:15], s[2:3], s17, v3, v[8:9]
	v_add_u32_e32 v3, 0x5a0, v3
	v_mov_b32_e32 v13, v14
	v_mad_u64_u32 v[14:15], s[2:3], s16, v3, 0
	v_mov_b32_e32 v8, v15
	v_mad_u64_u32 v[16:17], s[2:3], s17, v3, v[8:9]
	v_mov_b32_e32 v18, v25
	v_mov_b32_e32 v15, v16
	;; [unrolled: 1-line block ×4, first 2 shown]
	v_add_u32_e32 v3, 0x540, v32
	v_lshrrev_b32_e32 v7, 5, v3
	v_lshl_add_u64 v[12:13], v[12:13], 3, v[34:35]
	s_waitcnt vmcnt(5)
	v_pk_mul_f32 v[18:19], v[20:21], v[18:19] op_sel_hi:[1,0]
	v_mul_hi_u32 v7, v7, s1
	v_pk_fma_f32 v[8:9], v[8:9], v[20:21], v[18:19] op_sel:[0,0,1] op_sel_hi:[1,1,0] neg_lo:[0,0,1] neg_hi:[0,0,1]
	v_pk_fma_f32 v[16:17], v[16:17], v[20:21], v[18:19] op_sel:[0,0,1] op_sel_hi:[0,1,0]
	v_mov_b32_e32 v9, v17
	v_pk_add_f32 v[8:9], v[10:11], v[8:9] neg_lo:[0,1] neg_hi:[0,1]
	v_lshl_add_u64 v[14:15], v[14:15], 3, v[34:35]
	v_pk_fma_f32 v[10:11], v[10:11], 2.0, v[8:9] op_sel_hi:[1,0,1] neg_lo:[0,0,1] neg_hi:[0,0,1]
	global_store_dwordx2 v[12:13], v[10:11], off
	global_store_dwordx2 v[14:15], v[8:9], off
	v_mul_u32_u24_e32 v8, 0x5a0, v7
	v_sub_u32_e32 v3, v3, v8
	v_mad_u32_u24 v3, v7, s0, v3
	v_mad_u64_u32 v[8:9], s[0:1], s16, v3, 0
	v_mov_b32_e32 v10, v9
	v_mad_u64_u32 v[10:11], s[0:1], s17, v3, v[10:11]
	v_add_u32_e32 v3, 0x5a0, v3
	v_mov_b32_e32 v9, v10
	v_mad_u64_u32 v[10:11], s[0:1], s16, v3, 0
	v_mov_b32_e32 v12, v11
	v_mad_u64_u32 v[12:13], s[0:1], s17, v3, v[12:13]
	v_mov_b32_e32 v11, v12
	v_lshl_add_u64 v[8:9], v[8:9], 3, v[34:35]
	v_lshl_add_u64 v[10:11], v[10:11], 3, v[34:35]
	s_waitcnt vmcnt(4)
	v_pk_mul_f32 v[2:3], v[0:1], v[2:3] op_sel_hi:[1,0]
	s_nop 0
	v_pk_fma_f32 v[12:13], v[6:7], v[0:1], v[2:3] op_sel:[0,0,1] op_sel_hi:[1,1,0] neg_lo:[0,0,1] neg_hi:[0,0,1]
	v_pk_fma_f32 v[0:1], v[6:7], v[0:1], v[2:3] op_sel:[0,0,1] op_sel_hi:[0,1,0]
	v_mov_b32_e32 v13, v1
	v_pk_add_f32 v[0:1], v[4:5], v[12:13] neg_lo:[0,1] neg_hi:[0,1]
	s_nop 0
	v_pk_fma_f32 v[2:3], v[4:5], 2.0, v[0:1] op_sel_hi:[1,0,1] neg_lo:[0,0,1] neg_hi:[0,0,1]
	global_store_dwordx2 v[8:9], v[2:3], off
	global_store_dwordx2 v[10:11], v[0:1], off
.LBB0_15:
	s_endpgm
	.section	.rodata,"a",@progbits
	.p2align	6, 0x0
	.amdhsa_kernel fft_rtc_fwd_len2880_factors_10_6_6_2_2_2_wgs_96_tpt_96_halfLds_sp_op_CI_CI_sbrr_dirReg
		.amdhsa_group_segment_fixed_size 0
		.amdhsa_private_segment_fixed_size 0
		.amdhsa_kernarg_size 104
		.amdhsa_user_sgpr_count 2
		.amdhsa_user_sgpr_dispatch_ptr 0
		.amdhsa_user_sgpr_queue_ptr 0
		.amdhsa_user_sgpr_kernarg_segment_ptr 1
		.amdhsa_user_sgpr_dispatch_id 0
		.amdhsa_user_sgpr_kernarg_preload_length 0
		.amdhsa_user_sgpr_kernarg_preload_offset 0
		.amdhsa_user_sgpr_private_segment_size 0
		.amdhsa_uses_dynamic_stack 0
		.amdhsa_enable_private_segment 0
		.amdhsa_system_sgpr_workgroup_id_x 1
		.amdhsa_system_sgpr_workgroup_id_y 0
		.amdhsa_system_sgpr_workgroup_id_z 0
		.amdhsa_system_sgpr_workgroup_info 0
		.amdhsa_system_vgpr_workitem_id 0
		.amdhsa_next_free_vgpr 202
		.amdhsa_next_free_sgpr 32
		.amdhsa_accum_offset 204
		.amdhsa_reserve_vcc 1
		.amdhsa_float_round_mode_32 0
		.amdhsa_float_round_mode_16_64 0
		.amdhsa_float_denorm_mode_32 3
		.amdhsa_float_denorm_mode_16_64 3
		.amdhsa_dx10_clamp 1
		.amdhsa_ieee_mode 1
		.amdhsa_fp16_overflow 0
		.amdhsa_tg_split 0
		.amdhsa_exception_fp_ieee_invalid_op 0
		.amdhsa_exception_fp_denorm_src 0
		.amdhsa_exception_fp_ieee_div_zero 0
		.amdhsa_exception_fp_ieee_overflow 0
		.amdhsa_exception_fp_ieee_underflow 0
		.amdhsa_exception_fp_ieee_inexact 0
		.amdhsa_exception_int_div_zero 0
	.end_amdhsa_kernel
	.text
.Lfunc_end0:
	.size	fft_rtc_fwd_len2880_factors_10_6_6_2_2_2_wgs_96_tpt_96_halfLds_sp_op_CI_CI_sbrr_dirReg, .Lfunc_end0-fft_rtc_fwd_len2880_factors_10_6_6_2_2_2_wgs_96_tpt_96_halfLds_sp_op_CI_CI_sbrr_dirReg
                                        ; -- End function
	.section	.AMDGPU.csdata,"",@progbits
; Kernel info:
; codeLenInByte = 20444
; NumSgprs: 38
; NumVgprs: 202
; NumAgprs: 0
; TotalNumVgprs: 202
; ScratchSize: 0
; MemoryBound: 0
; FloatMode: 240
; IeeeMode: 1
; LDSByteSize: 0 bytes/workgroup (compile time only)
; SGPRBlocks: 4
; VGPRBlocks: 25
; NumSGPRsForWavesPerEU: 38
; NumVGPRsForWavesPerEU: 202
; AccumOffset: 204
; Occupancy: 2
; WaveLimiterHint : 1
; COMPUTE_PGM_RSRC2:SCRATCH_EN: 0
; COMPUTE_PGM_RSRC2:USER_SGPR: 2
; COMPUTE_PGM_RSRC2:TRAP_HANDLER: 0
; COMPUTE_PGM_RSRC2:TGID_X_EN: 1
; COMPUTE_PGM_RSRC2:TGID_Y_EN: 0
; COMPUTE_PGM_RSRC2:TGID_Z_EN: 0
; COMPUTE_PGM_RSRC2:TIDIG_COMP_CNT: 0
; COMPUTE_PGM_RSRC3_GFX90A:ACCUM_OFFSET: 50
; COMPUTE_PGM_RSRC3_GFX90A:TG_SPLIT: 0
	.text
	.p2alignl 6, 3212836864
	.fill 256, 4, 3212836864
	.type	__hip_cuid_652aee096f1649a5,@object ; @__hip_cuid_652aee096f1649a5
	.section	.bss,"aw",@nobits
	.globl	__hip_cuid_652aee096f1649a5
__hip_cuid_652aee096f1649a5:
	.byte	0                               ; 0x0
	.size	__hip_cuid_652aee096f1649a5, 1

	.ident	"AMD clang version 19.0.0git (https://github.com/RadeonOpenCompute/llvm-project roc-6.4.0 25133 c7fe45cf4b819c5991fe208aaa96edf142730f1d)"
	.section	".note.GNU-stack","",@progbits
	.addrsig
	.addrsig_sym __hip_cuid_652aee096f1649a5
	.amdgpu_metadata
---
amdhsa.kernels:
  - .agpr_count:     0
    .args:
      - .actual_access:  read_only
        .address_space:  global
        .offset:         0
        .size:           8
        .value_kind:     global_buffer
      - .offset:         8
        .size:           8
        .value_kind:     by_value
      - .actual_access:  read_only
        .address_space:  global
        .offset:         16
        .size:           8
        .value_kind:     global_buffer
      - .actual_access:  read_only
        .address_space:  global
        .offset:         24
        .size:           8
        .value_kind:     global_buffer
      - .actual_access:  read_only
        .address_space:  global
        .offset:         32
        .size:           8
        .value_kind:     global_buffer
      - .offset:         40
        .size:           8
        .value_kind:     by_value
      - .actual_access:  read_only
        .address_space:  global
        .offset:         48
        .size:           8
        .value_kind:     global_buffer
      - .actual_access:  read_only
        .address_space:  global
        .offset:         56
        .size:           8
        .value_kind:     global_buffer
      - .offset:         64
        .size:           4
        .value_kind:     by_value
      - .actual_access:  read_only
        .address_space:  global
        .offset:         72
        .size:           8
        .value_kind:     global_buffer
      - .actual_access:  read_only
        .address_space:  global
        .offset:         80
        .size:           8
        .value_kind:     global_buffer
      - .actual_access:  read_only
        .address_space:  global
        .offset:         88
        .size:           8
        .value_kind:     global_buffer
      - .actual_access:  write_only
        .address_space:  global
        .offset:         96
        .size:           8
        .value_kind:     global_buffer
    .group_segment_fixed_size: 0
    .kernarg_segment_align: 8
    .kernarg_segment_size: 104
    .language:       OpenCL C
    .language_version:
      - 2
      - 0
    .max_flat_workgroup_size: 96
    .name:           fft_rtc_fwd_len2880_factors_10_6_6_2_2_2_wgs_96_tpt_96_halfLds_sp_op_CI_CI_sbrr_dirReg
    .private_segment_fixed_size: 0
    .sgpr_count:     38
    .sgpr_spill_count: 0
    .symbol:         fft_rtc_fwd_len2880_factors_10_6_6_2_2_2_wgs_96_tpt_96_halfLds_sp_op_CI_CI_sbrr_dirReg.kd
    .uniform_work_group_size: 1
    .uses_dynamic_stack: false
    .vgpr_count:     202
    .vgpr_spill_count: 0
    .wavefront_size: 64
amdhsa.target:   amdgcn-amd-amdhsa--gfx950
amdhsa.version:
  - 1
  - 2
...

	.end_amdgpu_metadata
